;; amdgpu-corpus repo=ROCm/rocFFT kind=compiled arch=gfx950 opt=O3
	.text
	.amdgcn_target "amdgcn-amd-amdhsa--gfx950"
	.amdhsa_code_object_version 6
	.protected	bluestein_single_back_len1960_dim1_sp_op_CI_CI ; -- Begin function bluestein_single_back_len1960_dim1_sp_op_CI_CI
	.globl	bluestein_single_back_len1960_dim1_sp_op_CI_CI
	.p2align	8
	.type	bluestein_single_back_len1960_dim1_sp_op_CI_CI,@function
bluestein_single_back_len1960_dim1_sp_op_CI_CI: ; @bluestein_single_back_len1960_dim1_sp_op_CI_CI
; %bb.0:
	s_load_dwordx4 s[4:7], s[0:1], 0x28
	v_mul_u32_u24_e32 v1, 0x493, v0
	v_mov_b32_e32 v175, 0
	v_add_u32_sdwa v6, s2, v1 dst_sel:DWORD dst_unused:UNUSED_PAD src0_sel:DWORD src1_sel:WORD_1
	v_mov_b32_e32 v7, v175
	s_waitcnt lgkmcnt(0)
	v_cmp_gt_u64_e32 vcc, s[4:5], v[6:7]
	s_and_saveexec_b64 s[2:3], vcc
	s_cbranch_execz .LBB0_25
; %bb.1:
	s_load_dwordx4 s[8:11], s[0:1], 0x18
	s_load_dwordx2 s[14:15], s[0:1], 0x0
	v_mov_b32_e32 v2, s6
	v_mov_b32_e32 v3, s7
	;; [unrolled: 1-line block ×3, first 2 shown]
	s_waitcnt lgkmcnt(0)
	s_load_dwordx4 s[4:7], s[8:9], 0x0
	v_mul_lo_u16_sdwa v1, v1, v4 dst_sel:DWORD dst_unused:UNUSED_PAD src0_sel:WORD_1 src1_sel:DWORD
	v_sub_u16_e32 v174, v0, v1
	v_accvgpr_write_b32 a70, v6
	v_lshlrev_b32_e32 v182, 3, v174
	s_waitcnt lgkmcnt(0)
	v_mad_u64_u32 v[0:1], s[2:3], s6, v6, 0
	v_mov_b32_e32 v4, v1
	v_mad_u64_u32 v[4:5], s[2:3], s7, v6, v[4:5]
	v_mov_b32_e32 v1, v4
	v_mad_u64_u32 v[4:5], s[2:3], s4, v174, 0
	v_mov_b32_e32 v6, v5
	v_mad_u64_u32 v[6:7], s[2:3], s5, v174, v[6:7]
	s_mul_i32 s2, s5, 0x1ea
	s_mul_hi_u32 s3, s4, 0x1ea
	v_mov_b32_e32 v5, v6
	v_lshl_add_u64 v[0:1], v[0:1], 3, v[2:3]
	s_add_i32 s3, s3, s2
	s_mul_i32 s2, s4, 0x1ea
	v_lshl_add_u64 v[2:3], v[4:5], 3, v[0:1]
	v_mov_b32_e32 v183, v175
	s_lshl_b64 s[16:17], s[2:3], 3
	v_lshl_add_u64 v[34:35], s[14:15], 0, v[182:183]
	v_lshl_add_u64 v[4:5], v[2:3], 0, s[16:17]
	s_movk_i32 s2, 0x1000
	global_load_dwordx2 v[66:67], v182, s[14:15]
	global_load_dwordx2 v[62:63], v182, s[14:15] offset:3920
	v_lshl_add_u64 v[6:7], v[4:5], 0, s[16:17]
	global_load_dwordx2 v[12:13], v[2:3], off
	global_load_dwordx2 v[10:11], v[4:5], off
	;; [unrolled: 1-line block ×3, first 2 shown]
	v_add_co_u32_e32 v2, vcc, s2, v34
	s_movk_i32 s2, 0x2000
	s_nop 0
	v_addc_co_u32_e32 v3, vcc, 0, v35, vcc
	v_add_co_u32_e32 v4, vcc, s2, v34
	global_load_dwordx2 v[58:59], v[2:3], off offset:3744
	v_lshl_add_u64 v[14:15], v[6:7], 0, s[16:17]
	v_addc_co_u32_e32 v5, vcc, 0, v35, vcc
	global_load_dwordx2 v[54:55], v[4:5], off offset:3568
	global_load_dwordx2 v[6:7], v[14:15], off
	v_mov_b32_e32 v48, 0xffffd3d0
	v_mad_u64_u32 v[16:17], s[2:3], s4, v48, v[14:15]
	s_mul_i32 s2, s5, 0xffffd3d0
	s_sub_i32 s2, s2, s4
	v_add_u32_e32 v17, s2, v17
	global_load_dwordx2 v[14:15], v[16:17], off
	global_load_dwordx2 v[64:65], v182, s[14:15] offset:448
	v_lshl_add_u64 v[18:19], v[16:17], 0, s[16:17]
	global_load_dwordx2 v[16:17], v[18:19], off
	global_load_dwordx2 v[44:45], v[2:3], off offset:272
	v_lshl_add_u64 v[20:21], v[18:19], 0, s[16:17]
	v_lshl_add_u64 v[22:23], v[20:21], 0, s[16:17]
	v_mad_u64_u32 v[24:25], s[6:7], s4, v48, v[22:23]
	global_load_dwordx2 v[42:43], v[4:5], off offset:96
	global_load_dwordx2 v[18:19], v[20:21], off
	global_load_dwordx2 v[40:41], v[4:5], off offset:4016
	v_add_u32_e32 v25, s2, v25
	global_load_dwordx2 v[20:21], v[22:23], off
	global_load_dwordx2 v[36:37], v182, s[14:15] offset:896
	v_lshl_add_u64 v[26:27], v[24:25], 0, s[16:17]
	global_load_dwordx2 v[22:23], v[24:25], off
	global_load_dwordx2 v[38:39], v[2:3], off offset:720
	s_load_dwordx4 s[8:11], s[10:11], 0x0
	global_load_dwordx2 v[24:25], v[26:27], off
	v_lshl_add_u64 v[26:27], v[26:27], 0, s[16:17]
	global_load_dwordx2 v[50:51], v182, s[14:15] offset:1344
	global_load_dwordx2 v[46:47], v[4:5], off offset:544
	global_load_dwordx2 v[60:61], v[2:3], off offset:2064
	;; [unrolled: 1-line block ×4, first 2 shown]
	global_load_dwordx2 v[28:29], v[26:27], off
	s_movk_i32 s3, 0x3000
	v_lshl_add_u64 v[26:27], v[26:27], 0, s[16:17]
	global_load_dwordx2 v[30:31], v[26:27], off
	v_accvgpr_write_b32 a0, v34
	v_accvgpr_write_b32 a1, v35
	s_load_dwordx2 s[12:13], s[0:1], 0x38
	s_waitcnt vmcnt(26)
	v_accvgpr_write_b32 a46, v66
	s_waitcnt vmcnt(24)
	v_mul_f32_e32 v32, v13, v67
	v_mul_f32_e32 v33, v12, v67
	v_fmac_f32_e32 v32, v12, v66
	s_waitcnt vmcnt(23)
	v_mul_f32_e32 v12, v11, v63
	v_fma_f32 v33, v13, v66, -v33
	v_mul_f32_e32 v13, v10, v63
	v_fmac_f32_e32 v12, v10, v62
	v_fma_f32 v13, v11, v62, -v13
	ds_write_b64 v182, v[12:13] offset:3920
	v_add_co_u32_e32 v12, vcc, s3, v34
	s_waitcnt vmcnt(21)
	v_mul_f32_e32 v10, v9, v59
	v_mul_f32_e32 v11, v8, v59
	v_fmac_f32_e32 v10, v8, v58
	v_fma_f32 v11, v9, v58, -v11
	s_waitcnt vmcnt(19)
	v_mul_f32_e32 v8, v7, v55
	v_fmac_f32_e32 v8, v6, v54
	v_mul_f32_e32 v6, v6, v55
	v_accvgpr_write_b32 a44, v62
	v_accvgpr_write_b32 a42, v58
	v_addc_co_u32_e32 v13, vcc, 0, v35, vcc
	ds_write_b64 v182, v[10:11] offset:7840
	v_fma_f32 v9, v7, v54, -v6
	v_accvgpr_write_b32 a47, v67
	v_accvgpr_write_b32 a45, v63
	;; [unrolled: 1-line block ×3, first 2 shown]
	global_load_dwordx2 v[66:67], v[12:13], off offset:368
	global_load_dwordx2 v[68:69], v[4:5], off offset:1888
	;; [unrolled: 1-line block ×4, first 2 shown]
	ds_write_b64 v182, v[8:9] offset:11760
	v_mad_u64_u32 v[8:9], s[6:7], s4, v48, v[26:27]
	v_add_u32_e32 v9, s2, v9
	global_load_dwordx2 v[10:11], v[8:9], off
	s_waitcnt vmcnt(22)
	v_mul_f32_e32 v6, v15, v65
	v_mul_f32_e32 v7, v14, v65
	v_fmac_f32_e32 v6, v14, v64
	v_fma_f32 v7, v15, v64, -v7
	v_accvgpr_write_b32 a38, v54
	v_accvgpr_write_b32 a40, v64
	ds_write2_b64 v182, v[32:33], v[6:7] offset1:56
	s_waitcnt vmcnt(20)
	v_mul_f32_e32 v6, v17, v45
	v_mul_f32_e32 v7, v16, v45
	v_lshl_add_u64 v[8:9], v[8:9], 0, s[16:17]
	v_accvgpr_write_b32 a39, v55
	v_accvgpr_write_b32 a41, v65
	global_load_dwordx2 v[86:87], v[2:3], off offset:1168
	global_load_dwordx2 v[80:81], v[2:3], off offset:1616
	v_fmac_f32_e32 v6, v16, v44
	v_fma_f32 v7, v17, v44, -v7
	global_load_dwordx2 v[64:65], v[4:5], off offset:992
	global_load_dwordx2 v[54:55], v[4:5], off offset:1440
	global_load_dwordx2 v[16:17], v[8:9], off
	v_lshl_add_u64 v[8:9], v[8:9], 0, s[16:17]
	global_load_dwordx2 v[26:27], v[8:9], off
	v_lshl_add_u64 v[8:9], v[8:9], 0, s[16:17]
	s_waitcnt vmcnt(24)
	v_mul_f32_e32 v14, v19, v43
	v_mul_f32_e32 v15, v18, v43
	global_load_dwordx2 v[32:33], v[8:9], off
	global_load_dwordx2 v[84:85], v[12:13], off offset:816
	v_mad_u64_u32 v[8:9], s[6:7], s4, v48, v[8:9]
	v_fmac_f32_e32 v14, v18, v42
	v_fma_f32 v15, v19, v42, -v15
	s_waitcnt vmcnt(24)
	v_mul_f32_e32 v18, v21, v41
	v_mul_f32_e32 v19, v20, v41
	v_add_u32_e32 v9, s2, v9
	v_fmac_f32_e32 v18, v20, v40
	v_fma_f32 v19, v21, v40, -v19
	s_waitcnt vmcnt(22)
	v_mul_f32_e32 v20, v23, v37
	v_mul_f32_e32 v21, v22, v37
	global_load_dwordx2 v[34:35], v[8:9], off
	global_load_dwordx2 v[82:83], v182, s[14:15] offset:1792
	v_accvgpr_write_b32 a22, v36
	v_lshl_add_u64 v[8:9], v[8:9], 0, s[16:17]
	v_fmac_f32_e32 v20, v22, v36
	v_accvgpr_write_b32 a23, v37
	v_fma_f32 v21, v23, v36, -v21
	s_waitcnt vmcnt(22)
	v_mul_f32_e32 v22, v25, v39
	global_load_dwordx2 v[36:37], v[8:9], off
	v_mul_f32_e32 v23, v24, v39
	v_fmac_f32_e32 v22, v24, v38
	v_accvgpr_write_b32 a18, v38
	v_fma_f32 v23, v25, v38, -v23
	v_lshl_add_u64 v[24:25], v[8:9], 0, s[16:17]
	v_add_u32_e32 v8, 0x1000, v182
	v_accvgpr_write_b32 a19, v39
	global_load_dwordx2 v[38:39], v[24:25], off
	ds_write2_b64 v8, v[6:7], v[22:23] offset0:34 offset1:90
	v_lshl_add_u64 v[6:7], v[24:25], 0, s[16:17]
	global_load_dwordx2 v[22:23], v[6:7], off
	global_load_dwordx2 v[78:79], v[12:13], off offset:1264
	v_mad_u64_u32 v[6:7], s[6:7], s4, v48, v[6:7]
	v_accvgpr_write_b32 a26, v40
	s_waitcnt vmcnt(20)
	v_mul_f32_e32 v24, v29, v47
	v_add_u32_e32 v7, s2, v7
	v_mul_f32_e32 v9, v28, v47
	v_accvgpr_write_b32 a27, v41
	global_load_dwordx2 v[40:41], v[6:7], off
	global_load_dwordx2 v[76:77], v182, s[14:15] offset:2240
	v_fmac_f32_e32 v24, v28, v46
	v_fma_f32 v25, v29, v46, -v9
	v_add_u32_e32 v9, 0x2000, v182
	v_lshl_add_u64 v[6:7], v[6:7], 0, s[16:17]
	global_load_dwordx2 v[28:29], v[6:7], off
	ds_write2_b64 v9, v[14:15], v[24:25] offset0:12 offset1:68
	v_lshl_add_u64 v[6:7], v[6:7], 0, s[16:17]
	v_accvgpr_write_b32 a28, v42
	global_load_dwordx2 v[14:15], v[6:7], off
	global_load_dwordx2 v[74:75], v[12:13], off offset:1712
	v_lshl_add_u64 v[6:7], v[6:7], 0, s[16:17]
	v_accvgpr_write_b32 a29, v43
	global_load_dwordx2 v[42:43], v[6:7], off
	v_mad_u64_u32 v[6:7], s[6:7], s4, v48, v[6:7]
	v_accvgpr_write_b32 a34, v44
	v_add_u32_e32 v7, s2, v7
	v_accvgpr_write_b32 a35, v45
	v_accvgpr_write_b32 a36, v46
	global_load_dwordx2 v[44:45], v[6:7], off
	global_load_dwordx2 v[72:73], v182, s[14:15] offset:2688
	v_lshl_add_u64 v[6:7], v[6:7], 0, s[16:17]
	v_accvgpr_write_b32 a37, v47
	s_waitcnt vmcnt(26)
	v_mul_f32_e32 v24, v31, v67
	v_mul_f32_e32 v25, v30, v67
	global_load_dwordx2 v[46:47], v[6:7], off
	v_fmac_f32_e32 v24, v30, v66
	v_fma_f32 v25, v31, v66, -v25
	v_add_u32_e32 v30, 0x2c00, v182
	v_lshl_add_u64 v[6:7], v[6:7], 0, s[16:17]
	ds_write2_b64 v30, v[18:19], v[24:25] offset0:118 offset1:174
	s_waitcnt vmcnt(23)
	v_mul_f32_e32 v18, v11, v51
	global_load_dwordx2 v[24:25], v[6:7], off
	v_fmac_f32_e32 v18, v10, v50
	v_mul_f32_e32 v10, v10, v51
	v_lshl_add_u64 v[6:7], v[6:7], 0, s[16:17]
	v_fma_f32 v19, v11, v50, -v10
	global_load_dwordx2 v[30:31], v[6:7], off
	global_load_dwordx2 v[70:71], v[12:13], off offset:2160
	v_mad_u64_u32 v[6:7], s[6:7], s4, v48, v[6:7]
	v_accvgpr_write_b32 a69, v67
	ds_write2_b64 v182, v[20:21], v[18:19] offset0:112 offset1:168
	v_add_u32_e32 v7, s2, v7
	v_accvgpr_write_b32 a68, v66
	global_load_dwordx2 v[18:19], v[6:7], off
	global_load_dwordx2 v[66:67], v182, s[14:15] offset:3136
	s_waitcnt vmcnt(23)
	v_mul_f32_e32 v10, v17, v87
	v_mul_f32_e32 v11, v16, v87
	v_lshl_add_u64 v[6:7], v[6:7], 0, s[16:17]
	v_fmac_f32_e32 v10, v16, v86
	v_fma_f32 v11, v17, v86, -v11
	global_load_dwordx2 v[16:17], v[6:7], off
	v_lshl_add_u64 v[6:7], v[6:7], 0, s[16:17]
	global_load_dwordx2 v[48:49], v[6:7], off
	v_accvgpr_write_b32 a12, v50
	s_waitcnt vmcnt(24)
	v_mul_f32_e32 v20, v27, v65
	v_mul_f32_e32 v21, v26, v65
	v_accvgpr_write_b32 a62, v64
	v_lshl_add_u64 v[6:7], v[6:7], 0, s[16:17]
	v_accvgpr_write_b32 a13, v51
	v_fmac_f32_e32 v20, v26, v64
	v_accvgpr_write_b32 a63, v65
	v_fma_f32 v21, v27, v64, -v21
	global_load_dwordx2 v[50:51], v[6:7], off
	global_load_dwordx2 v[64:65], v[12:13], off offset:2608
	s_waitcnt vmcnt(24)
	v_mul_f32_e32 v26, v33, v85
	v_mul_f32_e32 v12, v32, v85
	v_fmac_f32_e32 v26, v32, v84
	v_fma_f32 v27, v33, v84, -v12
	s_waitcnt vmcnt(21)
	v_mul_f32_e32 v32, v37, v81
	v_mul_f32_e32 v33, v36, v81
	v_fmac_f32_e32 v32, v36, v80
	v_fma_f32 v33, v37, v80, -v33
	ds_write2_b64 v8, v[10:11], v[32:33] offset0:146 offset1:202
	s_waitcnt vmcnt(20)
	v_mul_f32_e32 v10, v39, v55
	v_mul_f32_e32 v11, v38, v55
	v_fmac_f32_e32 v10, v38, v54
	v_fma_f32 v11, v39, v54, -v11
	v_accvgpr_write_b32 a52, v54
	ds_write2_b64 v9, v[20:21], v[10:11] offset0:124 offset1:180
	s_waitcnt vmcnt(18)
	v_mul_f32_e32 v10, v23, v79
	v_mul_f32_e32 v11, v22, v79
	v_accvgpr_write_b32 a53, v55
	v_fmac_f32_e32 v10, v22, v78
	v_fma_f32 v11, v23, v78, -v11
	v_add_u32_e32 v54, 0x3000, v182
	v_mul_f32_e32 v12, v35, v83
	v_mul_f32_e32 v13, v34, v83
	ds_write2_b64 v54, v[26:27], v[10:11] offset0:102 offset1:158
	s_waitcnt vmcnt(16)
	v_mul_f32_e32 v20, v41, v77
	v_mul_f32_e32 v10, v40, v77
	v_fmac_f32_e32 v12, v34, v82
	v_fma_f32 v13, v35, v82, -v13
	v_fmac_f32_e32 v20, v40, v76
	v_fma_f32 v21, v41, v76, -v10
	v_add_u32_e32 v10, 0x400, v182
	s_waitcnt vmcnt(15)
	v_mul_f32_e32 v11, v28, v61
	ds_write2_b64 v10, v[12:13], v[20:21] offset0:96 offset1:152
	v_fma_f32 v13, v29, v60, -v11
	s_waitcnt vmcnt(14)
	v_mul_f32_e32 v11, v14, v69
	v_fma_f32 v21, v15, v68, -v11
	s_waitcnt vmcnt(12)
	v_mul_f32_e32 v11, v42, v75
	v_mul_f32_e32 v20, v15, v69
	v_fma_f32 v15, v43, v74, -v11
	s_waitcnt vmcnt(10)
	v_mul_f32_e32 v11, v44, v73
	;; [unrolled: 4-line block ×3, first 2 shown]
	v_mul_f32_e32 v11, v46, v57
	v_fmac_f32_e32 v12, v28, v60
	v_fmac_f32_e32 v26, v46, v56
	v_fma_f32 v27, v47, v56, -v11
	v_add_u32_e32 v55, 0x1800, v182
	ds_write2_b64 v55, v[12:13], v[26:27] offset0:2 offset1:58
	s_waitcnt vmcnt(8)
	v_mul_f32_e32 v12, v25, v63
	v_mul_f32_e32 v11, v24, v63
	v_fmac_f32_e32 v20, v14, v68
	v_fmac_f32_e32 v12, v24, v62
	v_fma_f32 v13, v25, v62, -v11
	v_add_u32_e32 v11, 0x2400, v182
	v_mul_f32_e32 v14, v43, v75
	ds_write2_b64 v11, v[20:21], v[12:13] offset0:108 offset1:164
	s_waitcnt vmcnt(6)
	v_mul_f32_e32 v12, v31, v71
	v_mul_f32_e32 v11, v30, v71
	v_fmac_f32_e32 v14, v42, v74
	v_fmac_f32_e32 v12, v30, v70
	v_fma_f32 v13, v31, v70, -v11
	v_add_u32_e32 v11, 0x3400, v182
	v_mul_f32_e32 v22, v45, v73
	v_accvgpr_write_b32 a6, v56
	ds_write2_b64 v11, v[14:15], v[12:13] offset0:86 offset1:142
	s_waitcnt vmcnt(4)
	v_mul_f32_e32 v12, v19, v67
	v_mul_f32_e32 v11, v18, v67
	v_fmac_f32_e32 v22, v44, v72
	v_accvgpr_write_b32 a7, v57
	v_fmac_f32_e32 v12, v18, v66
	v_fma_f32 v13, v19, v66, -v11
	v_add_u32_e32 v56, 0x800, v182
	ds_write2_b64 v56, v[22:23], v[12:13] offset0:80 offset1:136
	s_waitcnt vmcnt(3)
	v_mul_f32_e32 v12, v17, v53
	v_mul_f32_e32 v11, v16, v53
	v_fmac_f32_e32 v12, v16, v52
	v_fma_f32 v13, v17, v52, -v11
	ds_write_b64 v182, v[12:13] offset:7056
	s_waitcnt vmcnt(2)
	v_mul_f32_e32 v12, v49, v59
	v_mul_f32_e32 v11, v48, v59
	v_fmac_f32_e32 v12, v48, v58
	v_fma_f32 v13, v49, v58, -v11
	ds_write_b64 v182, v[12:13] offset:10976
	s_waitcnt vmcnt(0)
	v_mul_f32_e32 v12, v51, v65
	v_mul_f32_e32 v11, v50, v65
	v_fmac_f32_e32 v12, v50, v64
	v_fma_f32 v13, v51, v64, -v11
	v_accvgpr_write_b32 a66, v86
	v_accvgpr_write_b32 a64, v84
	;; [unrolled: 1-line block ×16, first 2 shown]
	ds_write_b64 v182, v[12:13] offset:14896
	v_or_b32_e32 v12, 0x1c0, v174
	v_mov_b32_e32 v13, v175
	s_mov_b64 s[2:3], 0x1e9
	s_mov_b64 s[6:7], 0x1ea
	v_accvgpr_write_b32 a67, v87
	v_accvgpr_write_b32 a65, v85
	;; [unrolled: 1-line block ×16, first 2 shown]
	v_cmp_lt_u64_e64 s[2:3], s[2:3], v[12:13]
	v_accvgpr_write_b32 a16, v12
	v_cmp_gt_u64_e64 s[6:7], s[6:7], v[12:13]
	s_and_saveexec_b64 s[18:19], s[6:7]
	s_cbranch_execz .LBB0_3
; %bb.2:
	v_accvgpr_read_b32 v16, a16
	v_mad_u64_u32 v[12:13], s[20:21], s4, v16, 0
	v_mov_b32_e32 v14, v13
	v_mad_u64_u32 v[14:15], s[20:21], s5, v16, v[14:15]
	v_mov_b32_e32 v11, 0xffffe320
	s_mulk_i32 s5, 0xe320
	v_mov_b32_e32 v13, v14
	v_mad_u64_u32 v[6:7], s[20:21], s4, v11, v[6:7]
	s_sub_i32 s4, s5, s4
	v_accvgpr_read_b32 v21, a1
	v_lshl_add_u64 v[0:1], v[12:13], 3, v[0:1]
	v_add_u32_e32 v7, s4, v7
	v_accvgpr_read_b32 v20, a0
	global_load_dwordx2 v[0:1], v[0:1], off
	s_nop 0
	global_load_dwordx2 v[12:13], v[6:7], off
	global_load_dwordx2 v[14:15], v[20:21], off offset:3584
	global_load_dwordx2 v[16:17], v[2:3], off offset:3408
	v_lshl_add_u64 v[2:3], v[6:7], 0, s[16:17]
	global_load_dwordx2 v[6:7], v[2:3], off
	global_load_dwordx2 v[18:19], v[4:5], off offset:3232
	v_add_co_u32_e32 v4, vcc, 0x3000, v20
	v_lshl_add_u64 v[2:3], v[2:3], 0, s[16:17]
	s_nop 0
	v_addc_co_u32_e32 v5, vcc, 0, v21, vcc
	global_load_dwordx2 v[20:21], v[4:5], off offset:3056
	global_load_dwordx2 v[22:23], v[2:3], off
	s_waitcnt vmcnt(5)
	v_mul_f32_e32 v11, v0, v15
	s_waitcnt vmcnt(4)
	v_mul_f32_e32 v2, v13, v17
	v_mul_f32_e32 v3, v12, v17
	v_fmac_f32_e32 v2, v12, v16
	v_fma_f32 v3, v13, v16, -v3
	s_waitcnt vmcnt(2)
	v_mul_f32_e32 v4, v7, v19
	v_mul_f32_e32 v5, v6, v19
	;; [unrolled: 1-line block ×3, first 2 shown]
	ds_write_b64 v182, v[2:3] offset:7504
	v_fmac_f32_e32 v4, v6, v18
	v_fma_f32 v5, v7, v18, -v5
	s_waitcnt vmcnt(0)
	v_mul_f32_e32 v2, v23, v21
	v_mul_f32_e32 v3, v22, v21
	v_fmac_f32_e32 v12, v0, v14
	v_fma_f32 v13, v1, v14, -v11
	ds_write_b64 v182, v[4:5] offset:11424
	v_fmac_f32_e32 v2, v22, v20
	v_fma_f32 v3, v23, v20, -v3
	ds_write_b64 v182, v[12:13] offset:3584
	ds_write_b64 v182, v[2:3] offset:15344
.LBB0_3:
	s_or_b64 exec, exec, s[18:19]
	v_add_u32_e32 v0, 0xc00, v182
	s_waitcnt lgkmcnt(0)
	; wave barrier
	s_waitcnt lgkmcnt(0)
	ds_read2_b64 v[30:33], v0 offset0:106 offset1:162
	v_add_u32_e32 v0, 0x1c00, v182
	ds_read2_b64 v[34:37], v0 offset0:84 offset1:140
	v_add_u32_e32 v4, 0x2800, v182
	v_add_u32_e32 v0, 0x1400, v182
	ds_read2_b64 v[26:29], v182 offset1:56
	ds_read2_b64 v[42:45], v4 offset0:190 offset1:246
	ds_read2_b64 v[18:21], v182 offset0:112 offset1:168
	;; [unrolled: 1-line block ×12, first 2 shown]
	v_add_u32_e32 v4, 0x3800, v182
	s_load_dwordx2 s[0:1], s[0:1], 0x8
	ds_read2_b64 v[62:65], v4 offset0:14 offset1:70
                                        ; implicit-def: $vgpr68
                                        ; implicit-def: $vgpr70
                                        ; implicit-def: $vgpr66
                                        ; implicit-def: $vgpr4
	s_and_saveexec_b64 s[4:5], s[6:7]
	s_cbranch_execz .LBB0_5
; %bb.4:
	ds_read_b64 v[66:67], v182 offset:3584
	ds_read_b64 v[72:73], v182 offset:7504
	;; [unrolled: 1-line block ×4, first 2 shown]
	s_waitcnt lgkmcnt(0)
	v_mov_b32_e32 v68, v66
	v_mov_b32_e32 v69, v72
	;; [unrolled: 1-line block ×6, first 2 shown]
.LBB0_5:
	s_or_b64 exec, exec, s[4:5]
	s_waitcnt lgkmcnt(0)
	v_pk_add_f32 v[72:73], v[26:27], v[34:35] neg_lo:[0,1] neg_hi:[0,1]
	v_pk_add_f32 v[74:75], v[30:31], v[42:43] neg_lo:[0,1] neg_hi:[0,1]
	;; [unrolled: 1-line block ×6, first 2 shown]
	v_pk_add_f32 v[38:39], v[34:35], v[36:37]
	v_pk_add_f32 v[4:5], v[34:35], v[36:37] neg_lo:[0,1] neg_hi:[0,1]
	v_pk_fma_f32 v[26:27], v[26:27], 2.0, v[72:73] op_sel_hi:[1,0,1] neg_lo:[0,0,1] neg_hi:[0,0,1]
	v_pk_fma_f32 v[30:31], v[30:31], 2.0, v[74:75] op_sel_hi:[1,0,1] neg_lo:[0,0,1] neg_hi:[0,0,1]
	v_mov_b32_e32 v5, v39
	v_pk_add_f32 v[38:39], v[26:27], v[30:31] neg_lo:[0,1] neg_hi:[0,1]
	v_pk_add_f32 v[78:79], v[32:33], v[44:45] neg_lo:[0,1] neg_hi:[0,1]
	v_pk_add_f32 v[82:83], v[20:21], v[40:41] neg_lo:[0,1] neg_hi:[0,1]
	v_pk_fma_f32 v[42:43], v[26:27], 2.0, v[38:39] op_sel_hi:[1,0,1] neg_lo:[0,0,1] neg_hi:[0,0,1]
	v_pk_add_f32 v[40:41], v[72:73], v[74:75] op_sel:[0,1] op_sel_hi:[1,0] neg_lo:[0,1] neg_hi:[0,1]
	v_pk_add_f32 v[26:27], v[72:73], v[74:75] op_sel:[0,1] op_sel_hi:[1,0]
	v_pk_fma_f32 v[28:29], v[28:29], 2.0, v[76:77] op_sel_hi:[1,0,1] neg_lo:[0,0,1] neg_hi:[0,0,1]
	v_mov_b32_e32 v41, v27
	v_pk_fma_f32 v[26:27], v[32:33], 2.0, v[78:79] op_sel_hi:[1,0,1] neg_lo:[0,0,1] neg_hi:[0,0,1]
	v_lshlrev_b32_e32 v187, 5, v174
	v_pk_fma_f32 v[44:45], v[72:73], 2.0, v[40:41] op_sel_hi:[1,0,1] neg_lo:[0,0,1] neg_hi:[0,0,1]
	v_pk_add_f32 v[26:27], v[28:29], v[26:27] neg_lo:[0,1] neg_hi:[0,1]
	s_waitcnt lgkmcnt(0)
	; wave barrier
	ds_write_b128 v187, v[42:45]
	ds_write_b128 v187, v[38:41] offset:16
	v_pk_fma_f32 v[30:31], v[28:29], 2.0, v[26:27] op_sel_hi:[1,0,1] neg_lo:[0,0,1] neg_hi:[0,0,1]
	v_pk_add_f32 v[28:29], v[76:77], v[78:79] op_sel:[0,1] op_sel_hi:[1,0] neg_lo:[0,1] neg_hi:[0,1]
	v_pk_add_f32 v[38:39], v[76:77], v[78:79] op_sel:[0,1] op_sel_hi:[1,0]
	v_lshl_add_u64 v[96:97], v[174:175], 0, 56
	v_pk_add_f32 v[46:47], v[22:23], v[46:47] neg_lo:[0,1] neg_hi:[0,1]
	v_mov_b32_e32 v29, v39
	v_lshlrev_b32_e32 v202, 5, v96
	v_pk_fma_f32 v[32:33], v[76:77], 2.0, v[28:29] op_sel_hi:[1,0,1] neg_lo:[0,0,1] neg_hi:[0,0,1]
	v_pk_fma_f32 v[18:19], v[18:19], 2.0, v[80:81] op_sel_hi:[1,0,1] neg_lo:[0,0,1] neg_hi:[0,0,1]
	;; [unrolled: 1-line block ×3, first 2 shown]
	ds_write_b128 v202, v[30:33]
	ds_write_b128 v202, v[26:29] offset:16
	v_pk_add_f32 v[26:27], v[18:19], v[22:23] neg_lo:[0,1] neg_hi:[0,1]
	s_mov_b64 s[4:5], 0x70
	v_pk_add_f32 v[48:49], v[24:25], v[48:49] neg_lo:[0,1] neg_hi:[0,1]
	v_pk_fma_f32 v[30:31], v[18:19], 2.0, v[26:27] op_sel_hi:[1,0,1] neg_lo:[0,0,1] neg_hi:[0,0,1]
	v_pk_add_f32 v[28:29], v[80:81], v[46:47] op_sel:[0,1] op_sel_hi:[1,0] neg_lo:[0,1] neg_hi:[0,1]
	v_pk_add_f32 v[18:19], v[80:81], v[46:47] op_sel:[0,1] op_sel_hi:[1,0]
	v_lshl_add_u64 v[88:89], v[174:175], 0, s[4:5]
	v_mov_b32_e32 v29, v19
	v_pk_fma_f32 v[20:21], v[20:21], 2.0, v[82:83] op_sel_hi:[1,0,1] neg_lo:[0,0,1] neg_hi:[0,0,1]
	v_pk_fma_f32 v[18:19], v[24:25], 2.0, v[48:49] op_sel_hi:[1,0,1] neg_lo:[0,0,1] neg_hi:[0,0,1]
	v_lshlrev_b32_e32 v203, 5, v88
	v_pk_fma_f32 v[32:33], v[80:81], 2.0, v[28:29] op_sel_hi:[1,0,1] neg_lo:[0,0,1] neg_hi:[0,0,1]
	v_pk_add_f32 v[18:19], v[20:21], v[18:19] neg_lo:[0,1] neg_hi:[0,1]
	s_mov_b64 s[4:5], 0xa8
	ds_write_b128 v203, v[30:33]
	ds_write_b128 v203, v[26:29] offset:16
	v_pk_fma_f32 v[22:23], v[20:21], 2.0, v[18:19] op_sel_hi:[1,0,1] neg_lo:[0,0,1] neg_hi:[0,0,1]
	v_pk_add_f32 v[20:21], v[82:83], v[48:49] op_sel:[0,1] op_sel_hi:[1,0] neg_lo:[0,1] neg_hi:[0,1]
	v_pk_add_f32 v[26:27], v[82:83], v[48:49] op_sel:[0,1] op_sel_hi:[1,0]
	v_lshl_add_u64 v[86:87], v[174:175], 0, s[4:5]
	v_pk_add_f32 v[50:51], v[10:11], v[50:51] neg_lo:[0,1] neg_hi:[0,1]
	v_pk_add_f32 v[58:59], v[14:15], v[58:59] neg_lo:[0,1] neg_hi:[0,1]
	v_mov_b32_e32 v21, v27
	v_lshlrev_b32_e32 v222, 5, v86
	v_pk_fma_f32 v[24:25], v[82:83], 2.0, v[20:21] op_sel_hi:[1,0,1] neg_lo:[0,0,1] neg_hi:[0,0,1]
	v_pk_fma_f32 v[10:11], v[10:11], 2.0, v[50:51] op_sel_hi:[1,0,1] neg_lo:[0,0,1] neg_hi:[0,0,1]
	;; [unrolled: 1-line block ×3, first 2 shown]
	ds_write_b128 v222, v[22:25]
	ds_write_b128 v222, v[18:21] offset:16
	v_pk_add_f32 v[18:19], v[10:11], v[14:15] neg_lo:[0,1] neg_hi:[0,1]
	s_mov_b64 s[4:5], 0xe0
	v_pk_add_f32 v[52:53], v[12:13], v[52:53] neg_lo:[0,1] neg_hi:[0,1]
	v_pk_add_f32 v[60:61], v[16:17], v[60:61] neg_lo:[0,1] neg_hi:[0,1]
	v_pk_fma_f32 v[22:23], v[10:11], 2.0, v[18:19] op_sel_hi:[1,0,1] neg_lo:[0,0,1] neg_hi:[0,0,1]
	v_pk_add_f32 v[20:21], v[50:51], v[58:59] op_sel:[0,1] op_sel_hi:[1,0] neg_lo:[0,1] neg_hi:[0,1]
	v_pk_add_f32 v[10:11], v[50:51], v[58:59] op_sel:[0,1] op_sel_hi:[1,0]
	v_lshl_add_u64 v[84:85], v[174:175], 0, s[4:5]
	v_mov_b32_e32 v21, v11
	v_pk_fma_f32 v[12:13], v[12:13], 2.0, v[52:53] op_sel_hi:[1,0,1] neg_lo:[0,0,1] neg_hi:[0,0,1]
	v_pk_fma_f32 v[10:11], v[16:17], 2.0, v[60:61] op_sel_hi:[1,0,1] neg_lo:[0,0,1] neg_hi:[0,0,1]
	v_lshlrev_b32_e32 v223, 5, v84
	v_pk_fma_f32 v[24:25], v[50:51], 2.0, v[20:21] op_sel_hi:[1,0,1] neg_lo:[0,0,1] neg_hi:[0,0,1]
	v_pk_add_f32 v[10:11], v[12:13], v[10:11] neg_lo:[0,1] neg_hi:[0,1]
	s_mov_b64 s[4:5], 0x118
	ds_write_b128 v223, v[22:25]
	ds_write_b128 v223, v[18:21] offset:16
	v_pk_fma_f32 v[14:15], v[12:13], 2.0, v[10:11] op_sel_hi:[1,0,1] neg_lo:[0,0,1] neg_hi:[0,0,1]
	v_pk_add_f32 v[12:13], v[52:53], v[60:61] op_sel:[0,1] op_sel_hi:[1,0] neg_lo:[0,1] neg_hi:[0,1]
	v_pk_add_f32 v[18:19], v[52:53], v[60:61] op_sel:[0,1] op_sel_hi:[1,0]
	v_lshl_add_u64 v[94:95], v[174:175], 0, s[4:5]
	v_pk_add_f32 v[54:55], v[0:1], v[54:55] neg_lo:[0,1] neg_hi:[0,1]
	v_pk_add_f32 v[62:63], v[6:7], v[62:63] neg_lo:[0,1] neg_hi:[0,1]
	v_mov_b32_e32 v13, v19
	v_lshlrev_b32_e32 v224, 5, v94
	v_pk_fma_f32 v[16:17], v[52:53], 2.0, v[12:13] op_sel_hi:[1,0,1] neg_lo:[0,0,1] neg_hi:[0,0,1]
	v_pk_fma_f32 v[0:1], v[0:1], 2.0, v[54:55] op_sel_hi:[1,0,1] neg_lo:[0,0,1] neg_hi:[0,0,1]
	;; [unrolled: 1-line block ×3, first 2 shown]
	ds_write_b128 v224, v[14:17]
	ds_write_b128 v224, v[10:13] offset:16
	v_pk_add_f32 v[10:11], v[0:1], v[6:7] neg_lo:[0,1] neg_hi:[0,1]
	s_mov_b64 s[4:5], 0x150
	v_pk_add_f32 v[56:57], v[2:3], v[56:57] neg_lo:[0,1] neg_hi:[0,1]
	v_pk_add_f32 v[64:65], v[8:9], v[64:65] neg_lo:[0,1] neg_hi:[0,1]
	v_pk_fma_f32 v[14:15], v[0:1], 2.0, v[10:11] op_sel_hi:[1,0,1] neg_lo:[0,0,1] neg_hi:[0,0,1]
	v_pk_add_f32 v[12:13], v[54:55], v[62:63] op_sel:[0,1] op_sel_hi:[1,0] neg_lo:[0,1] neg_hi:[0,1]
	v_pk_add_f32 v[0:1], v[54:55], v[62:63] op_sel:[0,1] op_sel_hi:[1,0]
	v_lshl_add_u64 v[92:93], v[174:175], 0, s[4:5]
	v_mov_b32_e32 v13, v1
	v_pk_fma_f32 v[2:3], v[2:3], 2.0, v[56:57] op_sel_hi:[1,0,1] neg_lo:[0,0,1] neg_hi:[0,0,1]
	v_pk_fma_f32 v[0:1], v[8:9], 2.0, v[64:65] op_sel_hi:[1,0,1] neg_lo:[0,0,1] neg_hi:[0,0,1]
	v_lshlrev_b32_e32 v225, 5, v92
	v_pk_fma_f32 v[16:17], v[54:55], 2.0, v[12:13] op_sel_hi:[1,0,1] neg_lo:[0,0,1] neg_hi:[0,0,1]
	v_pk_add_f32 v[0:1], v[2:3], v[0:1] neg_lo:[0,1] neg_hi:[0,1]
	s_mov_b64 s[4:5], 0x188
	ds_write_b128 v225, v[14:17]
	ds_write_b128 v225, v[10:13] offset:16
	v_pk_fma_f32 v[6:7], v[2:3], 2.0, v[0:1] op_sel_hi:[1,0,1] neg_lo:[0,0,1] neg_hi:[0,0,1]
	v_pk_add_f32 v[2:3], v[56:57], v[64:65] op_sel:[0,1] op_sel_hi:[1,0] neg_lo:[0,1] neg_hi:[0,1]
	v_pk_add_f32 v[10:11], v[56:57], v[64:65] op_sel:[0,1] op_sel_hi:[1,0]
	v_lshl_add_u64 v[90:91], v[174:175], 0, s[4:5]
	v_mov_b32_e32 v3, v11
	v_lshlrev_b32_e32 v226, 5, v90
	v_pk_fma_f32 v[8:9], v[56:57], 2.0, v[2:3] op_sel_hi:[1,0,1] neg_lo:[0,0,1] neg_hi:[0,0,1]
	ds_write_b128 v226, v[6:9]
	ds_write_b128 v226, v[0:3] offset:16
	v_accvgpr_read_b32 v0, a16
	v_lshlrev_b32_e32 v186, 5, v0
	s_and_saveexec_b64 s[4:5], s[6:7]
	s_cbranch_execz .LBB0_7
; %bb.6:
	v_mov_b32_e32 v0, v68
	v_mov_b32_e32 v1, v67
	;; [unrolled: 1-line block ×8, first 2 shown]
	v_pk_fma_f32 v[0:1], v[0:1], 2.0, v[8:9] op_sel_hi:[1,0,1] neg_lo:[0,0,1] neg_hi:[0,0,1]
	v_pk_fma_f32 v[2:3], v[2:3], 2.0, v[6:7] op_sel_hi:[1,0,1] neg_lo:[0,0,1] neg_hi:[0,0,1]
	;; [unrolled: 1-line block ×3, first 2 shown]
	v_pk_add_f32 v[2:3], v[0:1], v[2:3] neg_lo:[0,1] neg_hi:[0,1]
	s_nop 0
	v_pk_fma_f32 v[6:7], v[0:1], 2.0, v[2:3] op_sel_hi:[1,0,1] neg_lo:[0,0,1] neg_hi:[0,0,1]
	ds_write_b128 v186, v[6:9]
	ds_write_b128 v186, v[2:5] offset:16
.LBB0_7:
	s_or_b64 exec, exec, s[4:5]
	v_and_b32_e32 v118, 3, v174
	v_mul_u32_u24_e32 v0, 6, v118
	v_lshlrev_b32_e32 v6, 3, v0
	s_waitcnt lgkmcnt(0)
	; wave barrier
	s_waitcnt lgkmcnt(0)
	global_load_dwordx4 v[48:51], v6, s[0:1] offset:16
	global_load_dwordx4 v[0:3], v6, s[0:1] offset:32
	global_load_dwordx4 v[8:11], v6, s[0:1]
	v_add_u32_e32 v87, 0x1000, v182
	v_add_u32_e32 v12, 0x1c00, v182
	;; [unrolled: 1-line block ×6, first 2 shown]
	ds_read_b64 v[6:7], v182 offset:15232
	v_add_u32_e32 v119, 0x400, v182
	ds_read2_b64 v[40:43], v87 offset0:48 offset1:104
	ds_read2_b64 v[20:23], v85 offset0:16 offset1:72
	ds_read2_b64 v[28:31], v95 offset0:96 offset1:152
	ds_read2_b64 v[56:59], v91 offset0:64 offset1:120
	ds_read2_b64 v[44:47], v85 offset0:128 offset1:184
	ds_read2_b64 v[52:55], v91 offset0:176 offset1:232
	ds_read2_b64 v[36:39], v87 offset0:160 offset1:216
	ds_read2_b64 v[16:19], v12 offset0:112 offset1:168
	ds_read2_b64 v[32:35], v89 offset0:32 offset1:88
	ds_read2_b64 v[12:15], v119 offset0:96 offset1:152
	v_lshrrev_b32_e32 v24, 2, v174
	v_add_u32_e32 v120, 0x3800, v182
	v_add_u32_e32 v93, 0x800, v182
	v_mul_u32_u24_e32 v60, 28, v24
	ds_read2_b64 v[24:27], v120 offset1:56
	ds_read2_b64 v[80:83], v93 offset0:80 offset1:136
	s_waitcnt lgkmcnt(8)
	v_mov_b32_e32 v64, v57
	s_waitcnt lgkmcnt(3)
	v_mov_b32_e32 v65, v35
	v_mov_b32_e32 v98, v56
	;; [unrolled: 1-line block ×6, first 2 shown]
	v_or_b32_e32 v60, v60, v118
	v_lshlrev_b32_e32 v176, 3, v60
	s_mov_b32 s16, 0x3eae86e6
	s_mov_b32 s17, 0xbf08b237
	;; [unrolled: 1-line block ×10, first 2 shown]
	v_add_u32_e32 v97, 0x2400, v182
	v_mov_b32_e32 v164, v43
	v_mov_b32_e32 v168, v37
	s_mov_b32 s26, 0x3f5ff5aa
	s_mov_b32 s28, 0x3f3bfb3b
	v_accvgpr_write_b32 a84, v176
	v_lshlrev_b32_e32 v185, 2, v174
	v_lshlrev_b32_e32 v184, 2, v96
	;; [unrolled: 1-line block ×5, first 2 shown]
	s_waitcnt vmcnt(2)
	v_mov_b32_e32 v206, v51
	s_waitcnt vmcnt(1)
	v_mov_b32_e32 v207, v0
	v_pk_mul_f32 v[114:115], v[64:65], v[206:207]
	v_mov_b32_e32 v70, v3
	v_mov_b32_e32 v71, v50
	v_pk_fma_f32 v[108:109], v[56:57], v[50:51], v[114:115] neg_lo:[0,0,1] neg_hi:[0,0,1]
	v_mov_b32_e32 v56, v7
	v_mov_b32_e32 v68, v2
	;; [unrolled: 1-line block ×3, first 2 shown]
	v_pk_mul_f32 v[56:57], v[56:57], v[70:71]
	v_mul_f32_e32 v131, v29, v50
	v_mul_f32_e32 v165, v33, v1
	v_mov_b32_e32 v130, v3
	v_mov_b32_e32 v33, v17
	;; [unrolled: 1-line block ×4, first 2 shown]
	v_pk_fma_f32 v[112:113], v[62:63], v[68:69], v[56:57] neg_lo:[0,0,1] neg_hi:[0,0,1]
	v_pk_fma_f32 v[110:111], v[62:63], v[68:69], v[56:57]
	s_waitcnt lgkmcnt(1)
	v_pk_mul_f32 v[56:57], v[26:27], v[2:3] op_sel_hi:[1,0]
	v_mul_f32_e32 v72, v59, v1
	s_waitcnt vmcnt(0)
	v_mul_f32_e32 v73, v41, v11
	v_mov_b32_e32 v134, v0
	v_mov_b32_e32 v135, v48
	v_pk_mul_f32 v[64:65], v[32:33], v[136:137]
	v_pk_fma_f32 v[78:79], v[26:27], v[130:131], v[56:57] op_sel:[0,0,1] op_sel_hi:[1,0,0]
	v_pk_fma_f32 v[76:77], v[26:27], v[130:131], v[56:57] op_sel:[0,0,1] op_sel_hi:[1,0,0] neg_lo:[1,0,0] neg_hi:[1,0,0]
	s_waitcnt lgkmcnt(0)
	v_pk_mul_f32 v[26:27], v[82:83], v[8:9] op_sel_hi:[1,0]
	v_mul_f32_e32 v121, v55, v1
	v_fma_f32 v128, v58, v0, -v72
	v_fma_f32 v126, v40, v10, -v73
	v_pk_fma_f32 v[74:75], v[66:67], v[134:135], v[64:65]
	v_pk_fma_f32 v[72:73], v[66:67], v[134:135], v[64:65] neg_lo:[0,0,1] neg_hi:[0,0,1]
	v_pk_fma_f32 v[64:65], v[82:83], v[8:9], v[26:27] op_sel:[0,1,1] op_sel_hi:[1,1,0]
	v_pk_fma_f32 v[62:63], v[82:83], v[8:9], v[26:27] op_sel:[0,1,1] op_sel_hi:[1,1,0] neg_lo:[1,0,0] neg_hi:[1,0,0]
	v_mov_b32_e32 v26, v55
	v_mov_b32_e32 v55, v47
	;; [unrolled: 1-line block ×3, first 2 shown]
	v_pk_mul_f32 v[56:57], v[54:55], v[136:137]
	v_pk_mul_f32 v[82:83], v[80:81], v[8:9] op_sel_hi:[1,0]
	v_pk_fma_f32 v[66:67], v[26:27], v[134:135], v[56:57]
	v_pk_fma_f32 v[56:57], v[26:27], v[134:135], v[56:57] neg_lo:[0,0,1] neg_hi:[0,0,1]
	v_pk_mul_f32 v[26:27], v[24:25], v[2:3] op_sel_hi:[1,0]
	v_mul_f32_e32 v99, v53, v1
	v_pk_fma_f32 v[70:71], v[24:25], v[130:131], v[26:27] op_sel:[0,0,1] op_sel_hi:[1,0,0]
	v_pk_fma_f32 v[68:69], v[24:25], v[130:131], v[26:27] op_sel:[0,0,1] op_sel_hi:[1,0,0] neg_lo:[1,0,0] neg_hi:[1,0,0]
	ds_read2_b64 v[24:27], v182 offset1:56
	ds_read2_b64 v[122:125], v89 offset0:144 offset1:200
	v_pk_fma_f32 v[100:101], v[80:81], v[8:9], v[82:83] op_sel:[0,1,1] op_sel_hi:[1,1,0]
	v_pk_fma_f32 v[82:83], v[80:81], v[8:9], v[82:83] op_sel:[0,1,1] op_sel_hi:[1,1,0] neg_lo:[1,0,0] neg_hi:[1,0,0]
	v_mov_b32_e32 v80, v53
	v_mov_b32_e32 v53, v45
	v_mov_b32_e32 v81, v44
	v_pk_mul_f32 v[104:105], v[52:53], v[136:137]
	v_mul_f32_e32 v127, v23, v48
	v_pk_fma_f32 v[102:103], v[80:81], v[134:135], v[104:105]
	v_pk_fma_f32 v[80:81], v[80:81], v[134:135], v[104:105] neg_lo:[0,0,1] neg_hi:[0,0,1]
	s_waitcnt lgkmcnt(0)
	v_pk_mul_f32 v[104:105], v[124:125], v[2:3] op_sel_hi:[1,0]
	v_mul_f32_e32 v129, v22, v49
	v_pk_fma_f32 v[106:107], v[124:125], v[130:131], v[104:105] op_sel:[0,0,1] op_sel_hi:[1,0,0]
	v_pk_fma_f32 v[104:105], v[124:125], v[130:131], v[104:105] op_sel:[0,0,1] op_sel_hi:[1,0,0] neg_lo:[1,0,0] neg_hi:[1,0,0]
	v_mov_b32_e32 v124, v59
	v_mov_b32_e32 v59, v23
	;; [unrolled: 1-line block ×3, first 2 shown]
	v_pk_mul_f32 v[22:23], v[58:59], v[136:137]
	v_mov_b32_e32 v116, v11
	v_pk_fma_f32 v[58:59], v[124:125], v[134:135], v[22:23]
	v_pk_fma_f32 v[22:23], v[124:125], v[134:135], v[22:23] neg_lo:[0,0,1] neg_hi:[0,0,1]
	v_pk_mul_f32 v[124:125], v[14:15], v[8:9] op_sel_hi:[1,0]
	v_mov_b32_e32 v117, v51
	v_pk_fma_f32 v[134:135], v[14:15], v[8:9], v[124:125] op_sel:[0,1,1] op_sel_hi:[1,1,0]
	v_pk_fma_f32 v[14:15], v[14:15], v[8:9], v[124:125] op_sel:[0,1,1] op_sel_hi:[1,1,0] neg_lo:[1,0,0] neg_hi:[1,0,0]
	v_mov_b32_e32 v124, v41
	v_mov_b32_e32 v41, v29
	v_mul_f32_e32 v133, v28, v51
	v_mov_b32_e32 v60, v10
	v_mov_b32_e32 v61, v50
	;; [unrolled: 1-line block ×3, first 2 shown]
	v_pk_mul_f32 v[28:29], v[40:41], v[116:117]
	v_pk_add_f32 v[138:139], v[126:127], v[128:129]
	v_pk_fma_f32 v[40:41], v[124:125], v[10:11], v[28:29]
	v_pk_fma_f32 v[28:29], v[124:125], v[60:61], v[28:29] neg_lo:[0,0,1] neg_hi:[0,0,1]
	v_pk_mul_f32 v[124:125], v[122:123], v[2:3] op_sel_hi:[1,0]
	v_mov_b32_e32 v59, v23
	v_pk_fma_f32 v[136:137], v[122:123], v[130:131], v[124:125] op_sel:[0,0,1] op_sel_hi:[1,0,0]
	v_pk_fma_f32 v[122:123], v[122:123], v[130:131], v[124:125] op_sel:[0,0,1] op_sel_hi:[1,0,0] neg_lo:[1,0,0] neg_hi:[1,0,0]
	v_mov_b32_e32 v130, v15
	v_mov_b32_e32 v132, v123
	v_mov_b32_e32 v135, v15
	v_mov_b32_e32 v41, v29
	v_mov_b32_e32 v137, v123
	v_pk_add_f32 v[130:131], v[130:131], v[132:133]
	v_pk_add_f32 v[140:141], v[134:135], v[136:137]
	v_pk_add_f32 v[134:135], v[134:135], v[136:137] neg_lo:[0,1] neg_hi:[0,1]
	v_pk_add_f32 v[136:137], v[40:41], v[58:59]
	v_pk_add_f32 v[142:143], v[40:41], v[58:59] neg_lo:[0,1] neg_hi:[0,1]
	v_mov_b32_e32 v14, v131
	v_mov_b32_e32 v15, v126
	;; [unrolled: 1-line block ×4, first 2 shown]
	v_pk_add_f32 v[132:133], v[14:15], v[40:41] neg_lo:[0,1] neg_hi:[0,1]
	v_mov_b32_e32 v14, v134
	v_mov_b32_e32 v15, v143
	v_pk_add_f32 v[144:145], v[14:15], v[132:133] neg_lo:[0,1] neg_hi:[0,1]
	v_mov_b32_e32 v14, v132
	v_mov_b32_e32 v15, v135
	v_pk_add_f32 v[14:15], v[14:15], v[142:143] neg_lo:[0,1] neg_hi:[0,1]
	v_mov_b32_e32 v22, v23
	v_pk_mul_f32 v[146:147], v[14:15], s[24:25]
	v_pk_add_f32 v[14:15], v[142:143], v[132:133]
	v_mov_b32_e32 v23, v136
	v_mov_b32_e32 v28, v29
	;; [unrolled: 1-line block ×3, first 2 shown]
	v_pk_add_f32 v[148:149], v[14:15], v[134:135]
	v_pk_add_f32 v[14:15], v[138:139], v[130:131]
	;; [unrolled: 1-line block ×3, first 2 shown]
	v_mov_b32_e32 v139, v15
	v_mov_b32_e32 v28, v22
	v_pk_add_f32 v[28:29], v[28:29], v[138:139] neg_lo:[0,1] neg_hi:[0,1]
	v_mov_b32_e32 v131, v15
	v_mov_b32_e32 v40, v22
	;; [unrolled: 1-line block ×3, first 2 shown]
	v_pk_add_f32 v[14:15], v[14:15], v[22:23]
	v_pk_add_f32 v[150:151], v[130:131], v[40:41] neg_lo:[0,1] neg_hi:[0,1]
	v_pk_add_f32 v[152:153], v[24:25], v[14:15]
	v_pk_mul_f32 v[154:155], v[28:29], s[20:21]
	v_pk_fma_f32 v[156:157], v[14:15], s[18:19], v[152:153] op_sel_hi:[1,0,1] neg_lo:[1,0,0] neg_hi:[1,0,0]
	v_pk_fma_f32 v[14:15], v[150:151], s[22:23], v[154:155]
	v_pk_fma_f32 v[22:23], v[144:145], s[16:17], v[146:147]
	v_pk_add_f32 v[14:15], v[14:15], v[156:157]
	v_pk_fma_f32 v[22:23], v[148:149], s[4:5], v[22:23] op_sel_hi:[1,0,1]
	v_mul_f32_e32 v6, v6, v3
	v_pk_add_f32 v[58:59], v[14:15], v[22:23]
	v_pk_add_f32 v[40:41], v[14:15], v[22:23] neg_lo:[0,1] neg_hi:[0,1]
	v_mov_b32_e32 v14, v58
	v_mov_b32_e32 v15, v41
	ds_read2_b64 v[122:125], v97 offset0:80 offset1:136
	ds_read2_b64 v[126:129], v93 offset0:192 offset1:248
	;; [unrolled: 1-line block ×3, first 2 shown]
	s_waitcnt lgkmcnt(0)
	; wave barrier
	s_waitcnt lgkmcnt(0)
	ds_write2_b64 v176, v[152:153], v[14:15] offset1:4
	v_mul_f32_e32 v14, v43, v11
	v_fma_f32 v160, v42, v10, -v14
	v_mul_f32_e32 v14, v37, v11
	v_fma_f32 v162, v36, v10, -v14
	v_mul_f32_e32 v14, v39, v11
	v_fmac_f32_e32 v6, v7, v2
	v_mul_f32_e32 v7, v21, v11
	v_fma_f32 v152, v52, v0, -v99
	v_fma_f32 v158, v54, v0, -v121
	v_mov_b32_e32 v43, v31
	v_fma_f32 v52, v38, v10, -v14
	v_fma_f32 v54, v32, v0, -v165
	v_mul_f32_e32 v14, v35, v1
	v_mul_f32_e32 v137, v31, v50
	v_fma_f32 v31, v20, v10, -v7
	v_mov_b32_e32 v15, v21
	v_mov_b32_e32 v21, v20
	;; [unrolled: 1-line block ×5, first 2 shown]
	v_pk_mul_f32 v[166:167], v[42:43], v[116:117]
	v_mov_b32_e32 v42, v39
	v_mov_b32_e32 v39, v125
	v_mov_b32_e32 v37, v123
	v_mov_b32_e32 v99, v34
	v_fma_f32 v29, v34, v0, -v14
	v_pk_mul_f32 v[20:21], v[20:21], v[32:33]
	v_pk_mul_f32 v[34:35], v[126:127], v[8:9] op_sel_hi:[1,0]
	v_mov_b32_e32 v14, v18
	v_mov_b32_e32 v240, v48
	;; [unrolled: 1-line block ×3, first 2 shown]
	v_mul_f32_e32 v153, v44, v49
	v_mul_f32_e32 v159, v46, v49
	;; [unrolled: 1-line block ×4, first 2 shown]
	v_pk_mul_f32 v[44:45], v[38:39], v[116:117]
	v_pk_mul_f32 v[116:117], v[36:37], v[116:117]
	v_pk_fma_f32 v[46:47], v[126:127], v[8:9], v[34:35] op_sel:[0,1,1] op_sel_hi:[1,1,0]
	v_pk_fma_f32 v[126:127], v[126:127], v[8:9], v[34:35] op_sel:[0,1,1] op_sel_hi:[1,1,0] neg_lo:[1,0,0] neg_hi:[1,0,0]
	v_mov_b32_e32 v36, v129
	v_mov_b32_e32 v35, v19
	;; [unrolled: 1-line block ×3, first 2 shown]
	v_pk_fma_f32 v[38:39], v[18:19], v[48:49], v[20:21] neg_lo:[0,0,1] neg_hi:[0,0,1]
	v_pk_fma_f32 v[18:19], v[14:15], v[240:241], v[20:21]
	v_mov_b32_e32 v14, v9
	v_mov_b32_e32 v15, v49
	;; [unrolled: 1-line block ×3, first 2 shown]
	v_pk_mul_f32 v[14:15], v[36:37], v[14:15]
	v_mov_b32_e32 v238, v8
	v_mov_b32_e32 v239, v48
	;; [unrolled: 1-line block ×4, first 2 shown]
	v_mul_f32_e32 v32, v128, v9
	v_pk_fma_f32 v[36:37], v[34:35], v[238:239], v[14:15] neg_lo:[0,0,1] neg_hi:[0,0,1]
	v_pk_fma_f32 v[20:21], v[34:35], v[238:239], v[14:15]
	v_pk_fma_f32 v[34:35], v[98:99], v[236:237], v[114:115]
	v_mov_b32_e32 v165, v30
	v_mul_f32_e32 v141, v30, v51
	v_fmac_f32_e32 v32, v129, v8
	v_mov_b32_e32 v33, v36
	v_mov_b32_e32 v7, v112
	;; [unrolled: 1-line block ×8, first 2 shown]
	v_mul_f32_e32 v53, v17, v48
	v_add_f32_e32 v17, v32, v6
	v_pk_add_f32 v[14:15], v[32:33], v[6:7] neg_lo:[0,1] neg_hi:[0,1]
	v_add_f32_e32 v20, v31, v29
	v_pk_add_f32 v[18:19], v[30:31], v[28:29] neg_lo:[0,1] neg_hi:[0,1]
	v_pk_add_f32 v[28:29], v[36:37], v[112:113]
	v_mov_b32_e32 v6, v111
	v_mov_b32_e32 v7, v108
	v_pk_add_f32 v[30:31], v[38:39], v[108:109]
	v_mov_b32_e32 v32, v21
	v_mov_b32_e32 v33, v38
	;; [unrolled: 1-line block ×5, first 2 shown]
	v_pk_mul_f32 v[36:37], v[144:145], s[16:17]
	v_pk_mul_f32 v[38:39], v[150:151], s[22:23]
	v_pk_add_f32 v[6:7], v[6:7], v[32:33] neg_lo:[0,1] neg_hi:[0,1]
	v_pk_add_f32 v[32:33], v[142:143], v[134:135] neg_lo:[0,1] neg_hi:[0,1]
	v_pk_add_f32 v[34:35], v[138:139], v[130:131] neg_lo:[0,1] neg_hi:[0,1]
	v_mov_b32_e32 v98, v38
	v_mov_b32_e32 v99, v155
	v_mov_b32_e32 v108, v36
	v_mov_b32_e32 v109, v147
	v_mov_b32_e32 v155, v39
	v_mov_b32_e32 v147, v37
	v_pk_fma_f32 v[98:99], v[34:35], s[28:29], v[98:99] op_sel_hi:[1,0,1] neg_lo:[1,0,1] neg_hi:[1,0,1]
	v_pk_fma_f32 v[108:109], v[32:33], s[26:27], v[108:109] op_sel_hi:[1,0,1] neg_lo:[1,0,1] neg_hi:[1,0,1]
	;; [unrolled: 1-line block ×4, first 2 shown]
	v_pk_add_f32 v[98:99], v[98:99], v[156:157]
	v_pk_fma_f32 v[108:109], v[148:149], s[4:5], v[108:109] op_sel_hi:[1,0,1]
	v_pk_add_f32 v[34:35], v[34:35], v[156:157]
	v_pk_fma_f32 v[32:33], v[148:149], s[4:5], v[32:33] op_sel_hi:[1,0,1]
	v_pk_add_f32 v[114:115], v[98:99], v[108:109]
	v_pk_add_f32 v[128:129], v[98:99], v[108:109] neg_lo:[0,1] neg_hi:[0,1]
	v_pk_add_f32 v[130:131], v[34:35], v[32:33] neg_lo:[0,1] neg_hi:[0,1]
	v_pk_add_f32 v[132:133], v[34:35], v[32:33]
	v_mov_b32_e32 v38, v114
	v_mov_b32_e32 v39, v129
	v_mov_b32_e32 v32, v130
	v_mov_b32_e32 v33, v133
	ds_write2_b64 v176, v[38:39], v[32:33] offset0:8 offset1:12
	v_mov_b32_e32 v32, v6
	v_mov_b32_e32 v33, v15
	;; [unrolled: 1-line block ×4, first 2 shown]
	v_pk_add_f32 v[36:37], v[6:7], v[18:19]
	v_pk_add_f32 v[32:33], v[32:33], v[34:35] neg_lo:[0,1] neg_hi:[0,1]
	v_mov_b32_e32 v34, v14
	v_mov_b32_e32 v7, v19
	v_mul_f32_e32 v55, v16, v49
	v_pk_add_f32 v[134:135], v[34:35], v[6:7] neg_lo:[0,1] neg_hi:[0,1]
	v_add_f32_e32 v6, v20, v28
	v_mov_b32_e32 v7, v29
	v_add_f32_e32 v35, v31, v17
	v_mov_b32_e32 v34, v30
	v_mov_b32_e32 v16, v30
	;; [unrolled: 1-line block ×3, first 2 shown]
	v_pk_add_f32 v[6:7], v[6:7], v[34:35]
	v_pk_add_f32 v[34:35], v[16:17], v[20:21] neg_lo:[0,1] neg_hi:[0,1]
	v_pk_add_f32 v[38:39], v[12:13], v[6:7]
	v_pk_add_f32 v[12:13], v[36:37], v[14:15]
	v_pk_mul_f32 v[36:37], v[34:35], s[20:21]
	v_pk_add_f32 v[138:139], v[28:29], v[30:31] neg_lo:[0,1] neg_hi:[0,1]
	v_pk_mul_f32 v[34:35], v[32:33], s[24:25]
	v_pk_fma_f32 v[32:33], v[6:7], s[18:19], v[38:39] op_sel_hi:[1,0,1] neg_lo:[1,0,0] neg_hi:[1,0,0]
	v_pk_fma_f32 v[6:7], v[138:139], s[22:23], v[36:37]
	v_mov_b32_e32 v43, v124
	v_pk_add_f32 v[98:99], v[6:7], v[32:33]
	v_pk_fma_f32 v[6:7], v[134:135], s[16:17], v[34:35]
	v_pk_fma_f32 v[110:111], v[42:43], v[60:61], v[44:45] neg_lo:[0,0,1] neg_hi:[0,0,1]
	v_pk_fma_f32 v[108:109], v[12:13], s[4:5], v[6:7] op_sel_hi:[1,0,1]
	v_mul_f32_e32 v125, v125, v50
	v_pk_add_f32 v[6:7], v[98:99], v[108:109] neg_lo:[0,1] neg_hi:[0,1]
	v_pk_add_f32 v[98:99], v[98:99], v[108:109]
	v_pk_fma_f32 v[108:109], v[42:43], v[10:11], v[44:45]
	v_mul_f32_e32 v173, v124, v51
	v_mov_b32_e32 v47, v127
	v_mov_b32_e32 v79, v77
	;; [unrolled: 1-line block ×6, first 2 shown]
	v_pk_add_f32 v[42:43], v[46:47], v[78:79]
	v_pk_add_f32 v[44:45], v[46:47], v[78:79] neg_lo:[0,1] neg_hi:[0,1]
	v_pk_add_f32 v[46:47], v[108:109], v[74:75]
	v_pk_add_f32 v[78:79], v[108:109], v[74:75] neg_lo:[0,1] neg_hi:[0,1]
	v_pk_add_f32 v[74:75], v[124:125], v[172:173]
	v_pk_add_f32 v[76:77], v[52:53], v[54:55]
	v_mov_b32_e32 v53, v52
	v_mov_b32_e32 v52, v75
	;; [unrolled: 1-line block ×4, first 2 shown]
	v_pk_add_f32 v[108:109], v[52:53], v[54:55] neg_lo:[0,1] neg_hi:[0,1]
	v_mov_b32_e32 v52, v73
	v_mov_b32_e32 v53, v46
	;; [unrolled: 1-line block ×4, first 2 shown]
	v_pk_add_f32 v[72:73], v[52:53], v[54:55]
	v_pk_add_f32 v[112:113], v[76:77], v[74:75]
	v_mov_b32_e32 v52, v44
	v_mov_b32_e32 v53, v79
	;; [unrolled: 1-line block ×5, first 2 shown]
	v_pk_add_f32 v[124:125], v[52:53], v[108:109] neg_lo:[0,1] neg_hi:[0,1]
	v_mov_b32_e32 v52, v108
	v_mov_b32_e32 v53, v45
	v_pk_add_f32 v[110:111], v[110:111], v[76:77] neg_lo:[0,1] neg_hi:[0,1]
	v_mov_b32_e32 v75, v113
	v_pk_add_f32 v[126:127], v[112:113], v[72:73]
	v_mov_b32_e32 v73, v46
	v_pk_add_f32 v[52:53], v[52:53], v[78:79] neg_lo:[0,1] neg_hi:[0,1]
	v_pk_add_f32 v[142:143], v[74:75], v[72:73] neg_lo:[0,1] neg_hi:[0,1]
	v_pk_mul_f32 v[112:113], v[110:111], s[20:21]
	v_pk_add_f32 v[144:145], v[24:25], v[126:127]
	v_pk_mul_f32 v[54:55], v[52:53], s[24:25]
	v_pk_add_f32 v[52:53], v[78:79], v[108:109]
	v_pk_fma_f32 v[110:111], v[126:127], s[18:19], v[144:145] op_sel_hi:[1,0,1] neg_lo:[1,0,0] neg_hi:[1,0,0]
	v_pk_fma_f32 v[24:25], v[142:143], s[22:23], v[112:113]
	v_pk_add_f32 v[52:53], v[52:53], v[44:45]
	v_pk_add_f32 v[72:73], v[24:25], v[110:111]
	v_pk_fma_f32 v[24:25], v[124:125], s[16:17], v[54:55]
	v_mov_b32_e32 v169, v122
	v_pk_fma_f32 v[126:127], v[52:53], s[4:5], v[24:25] op_sel_hi:[1,0,1]
	v_mul_f32_e32 v123, v123, v50
	v_mul_f32_e32 v171, v122, v51
	v_pk_add_f32 v[24:25], v[72:73], v[126:127]
	v_pk_add_f32 v[72:73], v[72:73], v[126:127] neg_lo:[0,1] neg_hi:[0,1]
	v_pk_fma_f32 v[126:127], v[168:169], v[10:11], v[116:117]
	v_pk_fma_f32 v[116:117], v[168:169], v[60:61], v[116:117] neg_lo:[0,0,1] neg_hi:[0,0,1]
	v_mov_b32_e32 v122, v63
	v_mov_b32_e32 v170, v69
	;; [unrolled: 1-line block ×6, first 2 shown]
	v_pk_add_f32 v[62:63], v[122:123], v[170:171]
	v_pk_add_f32 v[68:69], v[162:163], v[158:159]
	v_pk_add_f32 v[146:147], v[64:65], v[70:71]
	v_pk_add_f32 v[64:65], v[64:65], v[70:71] neg_lo:[0,1] neg_hi:[0,1]
	v_pk_add_f32 v[70:71], v[126:127], v[66:67]
	v_pk_add_f32 v[66:67], v[126:127], v[66:67] neg_lo:[0,1] neg_hi:[0,1]
	v_mov_b32_e32 v123, v162
	v_mov_b32_e32 v122, v63
	;; [unrolled: 1-line block ×4, first 2 shown]
	v_pk_add_f32 v[122:123], v[122:123], v[126:127] neg_lo:[0,1] neg_hi:[0,1]
	v_pk_fma_f32 v[60:61], v[164:165], v[60:61], v[166:167] neg_lo:[0,0,1] neg_hi:[0,0,1]
	v_pk_fma_f32 v[126:127], v[164:165], v[10:11], v[166:167]
	v_mov_b32_e32 v101, v83
	v_mov_b32_e32 v107, v105
	;; [unrolled: 1-line block ×6, first 2 shown]
	v_pk_add_f32 v[148:149], v[100:101], v[106:107]
	v_pk_add_f32 v[100:101], v[100:101], v[106:107] neg_lo:[0,1] neg_hi:[0,1]
	v_pk_add_f32 v[106:107], v[126:127], v[102:103]
	v_pk_add_f32 v[82:83], v[136:137], v[140:141]
	;; [unrolled: 1-line block ×3, first 2 shown]
	v_pk_add_f32 v[102:103], v[126:127], v[102:103] neg_lo:[0,1] neg_hi:[0,1]
	v_mov_b32_e32 v127, v160
	v_mov_b32_e32 v126, v83
	;; [unrolled: 1-line block ×10, first 2 shown]
	v_pk_add_f32 v[126:127], v[126:127], v[136:137] neg_lo:[0,1] neg_hi:[0,1]
	ds_write2_b64 v176, v[132:133], v[128:129] offset0:16 offset1:20
	v_pk_add_f32 v[132:133], v[104:105], v[82:83]
	v_pk_add_f32 v[60:61], v[80:81], v[60:61]
	v_mov_b32_e32 v114, v126
	v_mov_b32_e32 v115, v101
	;; [unrolled: 1-line block ×7, first 2 shown]
	v_pk_add_f32 v[114:115], v[114:115], v[102:103] neg_lo:[0,1] neg_hi:[0,1]
	v_pk_add_f32 v[80:81], v[80:81], v[104:105] neg_lo:[0,1] neg_hi:[0,1]
	v_mov_b32_e32 v83, v133
	v_pk_add_f32 v[132:133], v[132:133], v[60:61]
	v_mov_b32_e32 v61, v106
	v_pk_add_f32 v[130:131], v[130:131], v[126:127] neg_lo:[0,1] neg_hi:[0,1]
	v_pk_mul_f32 v[114:115], v[114:115], s[24:25]
	v_pk_add_f32 v[128:129], v[102:103], v[126:127]
	v_pk_add_f32 v[60:61], v[82:83], v[60:61] neg_lo:[0,1] neg_hi:[0,1]
	v_pk_add_f32 v[26:27], v[26:27], v[132:133]
	v_pk_mul_f32 v[80:81], v[80:81], s[20:21]
	v_pk_add_f32 v[128:129], v[128:129], v[100:101]
	v_pk_fma_f32 v[132:133], v[132:133], s[18:19], v[26:27] op_sel_hi:[1,0,1] neg_lo:[1,0,0] neg_hi:[1,0,0]
	v_pk_fma_f32 v[136:137], v[60:61], s[22:23], v[80:81]
	v_pk_fma_f32 v[140:141], v[130:131], s[16:17], v[114:115]
	v_lshrrev_b32_e32 v16, 2, v96
	v_pk_add_f32 v[136:137], v[136:137], v[132:133]
	v_pk_fma_f32 v[140:141], v[128:129], s[4:5], v[140:141] op_sel_hi:[1,0,1]
	v_mul_u32_u24_e32 v16, 28, v16
	v_pk_add_f32 v[150:151], v[136:137], v[140:141]
	v_pk_add_f32 v[136:137], v[136:137], v[140:141] neg_lo:[0,1] neg_hi:[0,1]
	v_mov_b32_e32 v41, v59
	v_or_b32_e32 v16, v16, v118
	v_mov_b32_e32 v56, v57
	v_mov_b32_e32 v57, v70
	;; [unrolled: 1-line block ×4, first 2 shown]
	v_lshlrev_b32_e32 v21, 3, v16
	ds_write_b64 v176, v[40:41] offset:192
	v_mov_b32_e32 v40, v150
	v_mov_b32_e32 v41, v137
	v_pk_add_f32 v[56:57], v[56:57], v[58:59]
	v_pk_add_f32 v[58:59], v[68:69], v[62:63]
	v_mov_b32_e32 v103, v127
	ds_write2_b64 v21, v[26:27], v[40:41] offset1:4
	v_mov_b32_e32 v40, v122
	v_mov_b32_e32 v41, v65
	;; [unrolled: 1-line block ×5, first 2 shown]
	v_pk_add_f32 v[100:101], v[102:103], v[100:101] neg_lo:[0,1] neg_hi:[0,1]
	v_mov_b32_e32 v105, v106
	v_pk_mul_f32 v[102:103], v[130:131], s[16:17]
	v_pk_mul_f32 v[60:61], v[60:61], s[22:23]
	v_mov_b32_e32 v83, v148
	v_mov_b32_e32 v26, v64
	;; [unrolled: 1-line block ×3, first 2 shown]
	v_pk_add_f32 v[40:41], v[40:41], v[66:67] neg_lo:[0,1] neg_hi:[0,1]
	v_mov_b32_e32 v63, v59
	v_pk_add_f32 v[58:59], v[58:59], v[56:57]
	v_pk_add_f32 v[140:141], v[140:141], v[68:69] neg_lo:[0,1] neg_hi:[0,1]
	v_mov_b32_e32 v57, v70
	v_pk_add_f32 v[82:83], v[104:105], v[82:83] neg_lo:[0,1] neg_hi:[0,1]
	v_mov_b32_e32 v104, v60
	v_mov_b32_e32 v105, v81
	;; [unrolled: 1-line block ×6, first 2 shown]
	v_pk_add_f32 v[26:27], v[26:27], v[122:123] neg_lo:[0,1] neg_hi:[0,1]
	v_pk_mul_f32 v[40:41], v[40:41], s[24:25]
	v_pk_add_f32 v[22:23], v[22:23], v[58:59]
	v_pk_add_f32 v[116:117], v[66:67], v[122:123]
	v_pk_add_f32 v[56:57], v[62:63], v[56:57] neg_lo:[0,1] neg_hi:[0,1]
	v_pk_mul_f32 v[140:141], v[140:141], s[20:21]
	v_pk_fma_f32 v[104:105], v[82:83], s[28:29], v[104:105] op_sel_hi:[1,0,1] neg_lo:[1,0,1] neg_hi:[1,0,1]
	v_pk_fma_f32 v[106:107], v[100:101], s[26:27], v[106:107] op_sel_hi:[1,0,1] neg_lo:[1,0,1] neg_hi:[1,0,1]
	;; [unrolled: 1-line block ×4, first 2 shown]
	v_pk_add_f32 v[116:117], v[116:117], v[64:65]
	v_pk_fma_f32 v[58:59], v[58:59], s[18:19], v[22:23] op_sel_hi:[1,0,1] neg_lo:[1,0,0] neg_hi:[1,0,0]
	v_pk_fma_f32 v[152:153], v[56:57], s[22:23], v[140:141]
	v_pk_fma_f32 v[154:155], v[26:27], s[16:17], v[40:41]
	v_pk_add_f32 v[104:105], v[104:105], v[132:133]
	v_pk_fma_f32 v[106:107], v[128:129], s[4:5], v[106:107] op_sel_hi:[1,0,1]
	v_lshrrev_b32_e32 v16, 2, v88
	v_pk_add_f32 v[80:81], v[80:81], v[132:133]
	v_pk_fma_f32 v[100:101], v[128:129], s[4:5], v[100:101] op_sel_hi:[1,0,1]
	v_pk_add_f32 v[152:153], v[152:153], v[58:59]
	v_pk_fma_f32 v[154:155], v[116:117], s[4:5], v[154:155] op_sel_hi:[1,0,1]
	v_pk_add_f32 v[126:127], v[104:105], v[106:107]
	v_pk_add_f32 v[104:105], v[104:105], v[106:107] neg_lo:[0,1] neg_hi:[0,1]
	v_mul_u32_u24_e32 v16, 28, v16
	v_pk_add_f32 v[114:115], v[80:81], v[100:101] neg_lo:[0,1] neg_hi:[0,1]
	v_pk_add_f32 v[80:81], v[80:81], v[100:101]
	v_pk_add_f32 v[156:157], v[152:153], v[154:155]
	v_pk_add_f32 v[152:153], v[152:153], v[154:155] neg_lo:[0,1] neg_hi:[0,1]
	v_or_b32_e32 v16, v16, v118
	v_mov_b32_e32 v103, v105
	v_mov_b32_e32 v101, v81
	v_mov_b32_e32 v81, v115
	v_mov_b32_e32 v105, v127
	v_lshlrev_b32_e32 v29, 3, v16
	v_pk_mul_f32 v[26:27], v[26:27], s[16:17]
	v_pk_mul_f32 v[56:57], v[56:57], s[22:23]
	v_mov_b32_e32 v102, v126
	v_mov_b32_e32 v100, v114
	ds_write2_b64 v21, v[80:81], v[104:105] offset0:16 offset1:20
	v_mov_b32_e32 v137, v151
	v_mov_b32_e32 v80, v156
	;; [unrolled: 1-line block ×6, first 2 shown]
	ds_write2_b64 v21, v[102:103], v[100:101] offset0:8 offset1:12
	ds_write_b64 v21, v[136:137] offset:192
	ds_write2_b64 v29, v[22:23], v[80:81] offset1:4
	v_pk_add_f32 v[22:23], v[66:67], v[64:65] neg_lo:[0,1] neg_hi:[0,1]
	v_pk_add_f32 v[62:63], v[68:69], v[62:63] neg_lo:[0,1] neg_hi:[0,1]
	v_mov_b32_e32 v64, v56
	v_mov_b32_e32 v65, v141
	;; [unrolled: 1-line block ×6, first 2 shown]
	v_pk_fma_f32 v[64:65], v[62:63], s[28:29], v[64:65] op_sel_hi:[1,0,1] neg_lo:[1,0,1] neg_hi:[1,0,1]
	v_pk_fma_f32 v[66:67], v[22:23], s[26:27], v[66:67] op_sel_hi:[1,0,1] neg_lo:[1,0,1] neg_hi:[1,0,1]
	;; [unrolled: 1-line block ×4, first 2 shown]
	v_lshrrev_b32_e32 v16, 2, v86
	v_pk_add_f32 v[64:65], v[64:65], v[58:59]
	v_pk_fma_f32 v[66:67], v[116:117], s[4:5], v[66:67] op_sel_hi:[1,0,1]
	v_pk_add_f32 v[26:27], v[56:57], v[58:59]
	v_pk_fma_f32 v[22:23], v[116:117], s[4:5], v[22:23] op_sel_hi:[1,0,1]
	v_mul_u32_u24_e32 v16, 28, v16
	v_pk_add_f32 v[68:69], v[64:65], v[66:67]
	v_pk_add_f32 v[64:65], v[64:65], v[66:67] neg_lo:[0,1] neg_hi:[0,1]
	v_pk_add_f32 v[40:41], v[26:27], v[22:23] neg_lo:[0,1] neg_hi:[0,1]
	v_pk_add_f32 v[22:23], v[26:27], v[22:23]
	v_or_b32_e32 v16, v16, v118
	v_mov_b32_e32 v67, v65
	v_mov_b32_e32 v27, v23
	;; [unrolled: 1-line block ×4, first 2 shown]
	v_lshlrev_b32_e32 v16, 3, v16
	v_pk_mul_f32 v[82:83], v[124:125], s[16:17]
	v_pk_mul_f32 v[124:125], v[142:143], s[22:23]
	v_mov_b32_e32 v66, v68
	v_mov_b32_e32 v26, v40
	ds_write2_b64 v29, v[22:23], v[64:65] offset0:16 offset1:20
	v_mov_b32_e32 v153, v157
	v_mov_b32_e32 v22, v24
	v_mov_b32_e32 v23, v73
	v_mov_b32_e32 v79, v109
	v_mov_b32_e32 v77, v46
	v_mov_b32_e32 v75, v42
	ds_write2_b64 v29, v[66:67], v[26:27] offset0:8 offset1:12
	ds_write_b64 v29, v[152:153] offset:192
	ds_write2_b64 v16, v[144:145], v[22:23] offset1:4
	v_pk_add_f32 v[22:23], v[78:79], v[44:45] neg_lo:[0,1] neg_hi:[0,1]
	v_pk_add_f32 v[26:27], v[76:77], v[74:75] neg_lo:[0,1] neg_hi:[0,1]
	v_mov_b32_e32 v40, v124
	v_mov_b32_e32 v41, v113
	;; [unrolled: 1-line block ×6, first 2 shown]
	v_pk_fma_f32 v[40:41], v[26:27], s[28:29], v[40:41] op_sel_hi:[1,0,1] neg_lo:[1,0,1] neg_hi:[1,0,1]
	v_pk_fma_f32 v[42:43], v[22:23], s[26:27], v[42:43] op_sel_hi:[1,0,1] neg_lo:[1,0,1] neg_hi:[1,0,1]
	;; [unrolled: 1-line block ×4, first 2 shown]
	v_pk_add_f32 v[40:41], v[40:41], v[110:111]
	v_pk_fma_f32 v[42:43], v[52:53], s[4:5], v[42:43] op_sel_hi:[1,0,1]
	v_pk_add_f32 v[26:27], v[26:27], v[110:111]
	v_pk_fma_f32 v[22:23], v[52:53], s[4:5], v[22:23] op_sel_hi:[1,0,1]
	v_pk_add_f32 v[44:45], v[40:41], v[42:43]
	v_pk_add_f32 v[40:41], v[40:41], v[42:43] neg_lo:[0,1] neg_hi:[0,1]
	v_pk_add_f32 v[46:47], v[26:27], v[22:23] neg_lo:[0,1] neg_hi:[0,1]
	v_pk_add_f32 v[22:23], v[26:27], v[22:23]
	v_mov_b32_e32 v42, v44
	v_mov_b32_e32 v43, v41
	v_mov_b32_e32 v26, v46
	v_mov_b32_e32 v27, v23
	v_mov_b32_e32 v23, v47
	v_mov_b32_e32 v41, v45
	v_mov_b32_e32 v73, v25
	ds_write2_b64 v16, v[42:43], v[26:27] offset0:8 offset1:12
	ds_write2_b64 v16, v[22:23], v[40:41] offset0:16 offset1:20
	v_accvgpr_write_b32 a89, v16
	ds_write_b64 v16, v[72:73] offset:192
	v_lshrrev_b32_e32 v16, 2, v84
	v_mul_u32_u24_e32 v16, 28, v16
	v_pk_mul_f32 v[60:61], v[138:139], s[22:23]
	v_pk_mul_f32 v[106:107], v[134:135], s[16:17]
	v_accvgpr_write_b32 a109, v21
	v_accvgpr_write_b32 a123, v29
	v_or_b32_e32 v16, v16, v118
	v_mov_b32_e32 v21, v31
	v_mov_b32_e32 v29, v17
	v_lshlrev_b32_e32 v24, 3, v16
	v_pk_add_f32 v[16:17], v[20:21], v[28:29] neg_lo:[0,1] neg_hi:[0,1]
	v_pk_add_f32 v[14:15], v[18:19], v[14:15] neg_lo:[0,1] neg_hi:[0,1]
	v_mov_b32_e32 v18, v60
	v_mov_b32_e32 v19, v37
	;; [unrolled: 1-line block ×6, first 2 shown]
	v_pk_fma_f32 v[18:19], v[16:17], s[28:29], v[18:19] op_sel_hi:[1,0,1] neg_lo:[1,0,1] neg_hi:[1,0,1]
	v_pk_fma_f32 v[20:21], v[14:15], s[26:27], v[20:21] op_sel_hi:[1,0,1] neg_lo:[1,0,1] neg_hi:[1,0,1]
	;; [unrolled: 1-line block ×4, first 2 shown]
	v_mov_b32_e32 v22, v98
	v_mov_b32_e32 v23, v7
	v_pk_add_f32 v[18:19], v[18:19], v[32:33]
	v_pk_fma_f32 v[20:21], v[12:13], s[4:5], v[20:21] op_sel_hi:[1,0,1]
	v_pk_add_f32 v[16:17], v[16:17], v[32:33]
	v_pk_fma_f32 v[12:13], v[12:13], s[4:5], v[14:15] op_sel_hi:[1,0,1]
	ds_write2_b64 v24, v[38:39], v[22:23] offset1:4
	v_pk_add_f32 v[22:23], v[18:19], v[20:21]
	v_pk_add_f32 v[18:19], v[18:19], v[20:21] neg_lo:[0,1] neg_hi:[0,1]
	v_pk_add_f32 v[14:15], v[16:17], v[12:13] neg_lo:[0,1] neg_hi:[0,1]
	v_pk_add_f32 v[12:13], v[16:17], v[12:13]
	v_mov_b32_e32 v20, v22
	v_mov_b32_e32 v21, v19
	;; [unrolled: 1-line block ×7, first 2 shown]
	ds_write2_b64 v24, v[20:21], v[16:17] offset0:8 offset1:12
	ds_write2_b64 v24, v[12:13], v[18:19] offset0:16 offset1:20
	ds_write_b64 v24, v[6:7] offset:192
	s_waitcnt lgkmcnt(0)
	; wave barrier
	s_waitcnt lgkmcnt(0)
	ds_read2_b64 v[80:83], v182 offset1:56
	ds_read2_b64 v[12:15], v85 offset0:128 offset1:212
	ds_read2_b64 v[76:79], v95 offset0:12 offset1:68
	;; [unrolled: 1-line block ×9, first 2 shown]
	v_add_u32_e32 v7, 0x2c00, v182
	v_accvgpr_write_b32 a136, v24
	ds_read2_b64 v[40:43], v7 offset0:76 offset1:132
	ds_read2_b64 v[36:39], v87 offset0:48 offset1:104
	ds_read2_b64 v[32:35], v89 offset0:60 offset1:116
	ds_read2_b64 v[28:31], v87 offset0:160 offset1:216
	ds_read2_b64 v[24:27], v89 offset0:172 offset1:228
	ds_read2_b64 v[20:23], v85 offset0:16 offset1:72
	ds_read2_b64 v[16:19], v120 offset0:28 offset1:84
	v_cmp_gt_u16_e64 s[4:5], 28, v174
	s_and_saveexec_b64 s[16:17], s[4:5]
	s_cbranch_execz .LBB0_9
; %bb.8:
	ds_read_b64 v[6:7], v182 offset:7616
	ds_read_b64 v[4:5], v182 offset:15456
	s_waitcnt lgkmcnt(1)
	v_mov_b32_e32 v99, v7
.LBB0_9:
	s_or_b64 exec, exec, s[16:17]
	v_or_b32_e32 v103, 0x380, v174
	v_add_u16_e32 v106, 0x3b8, v174
	v_lshrrev_b16_e32 v85, 2, v96
	v_lshrrev_b16_e32 v93, 2, v88
	;; [unrolled: 1-line block ×5, first 2 shown]
	s_movk_i32 s16, 0xffe4
	v_and_b32_e32 v85, 63, v85
	v_and_b32_e32 v93, 63, v93
	;; [unrolled: 1-line block ×3, first 2 shown]
	v_mul_u32_u24_e32 v104, 0x4925, v104
	v_mul_u32_u24_e32 v107, 0x4925, v107
	s_mov_b32 s17, -1
	v_mul_lo_u16_e32 v85, 37, v85
	v_mov_b32_e32 v87, 28
	v_mul_lo_u16_e32 v95, 37, v93
	v_mul_lo_u16_e32 v97, 37, v97
	v_lshrrev_b32_e32 v104, 17, v104
	v_lshrrev_b32_e32 v107, 17, v107
	v_mov_b32_e32 v7, v99
	v_lshl_add_u64 v[98:99], v[174:175], 0, s[16:17]
	v_mul_lo_u16_sdwa v89, v85, v87 dst_sel:DWORD dst_unused:UNUSED_PAD src0_sel:BYTE_1 src1_sel:DWORD
	v_mul_lo_u16_sdwa v93, v95, v87 dst_sel:DWORD dst_unused:UNUSED_PAD src0_sel:BYTE_1 src1_sel:DWORD
	;; [unrolled: 1-line block ×3, first 2 shown]
	v_mul_lo_u16_e32 v105, 28, v104
	v_mul_lo_u16_e32 v107, 28, v107
	v_cndmask_b32_e64 v99, v99, 0, s[4:5]
	v_cndmask_b32_e64 v98, v98, v174, s[4:5]
	v_sub_u16_e32 v89, v96, v89
	v_sub_u16_e32 v93, v88, v93
	;; [unrolled: 1-line block ×5, first 2 shown]
	v_lshl_add_u64 v[100:101], v[98:99], 3, s[0:1]
	v_and_b32_e32 v89, 0xff, v89
	v_and_b32_e32 v96, 0xff, v93
	;; [unrolled: 1-line block ×3, first 2 shown]
	v_lshlrev_b32_e32 v105, 3, v103
	v_lshlrev_b32_e32 v106, 3, v106
	;; [unrolled: 1-line block ×5, first 2 shown]
	global_load_dwordx2 v[252:253], v[100:101], off offset:192
	global_load_dwordx2 v[248:249], v91, s[0:1] offset:192
	global_load_dwordx2 v[246:247], v93, s[0:1] offset:192
	;; [unrolled: 1-line block ×5, first 2 shown]
	v_lshrrev_b16_e32 v91, 2, v84
	v_lshrrev_b16_e32 v102, 2, v92
	v_mul_u32_u24_e32 v91, 0x4925, v91
	v_lshrrev_b16_e32 v93, 2, v94
	v_accvgpr_write_b32 a85, v106
	v_mul_u32_u24_e32 v102, 0x4925, v102
	v_lshrrev_b16_e32 v106, 2, v90
	v_lshrrev_b32_e32 v99, 17, v91
	v_mul_u32_u24_e32 v93, 0x4925, v93
	v_lshrrev_b32_e32 v102, 17, v102
	v_mul_u32_u24_e32 v106, 0x4925, v106
	v_mul_lo_u16_e32 v91, 28, v99
	v_lshrrev_b32_e32 v101, 17, v93
	v_mul_lo_u16_e32 v105, 28, v102
	v_lshrrev_b32_e32 v106, 17, v106
	v_sub_u16_e32 v100, v84, v91
	v_mul_lo_u16_e32 v93, 28, v101
	v_sub_u16_e32 v105, v92, v105
	v_mul_lo_u16_e32 v107, 28, v106
	v_lshlrev_b32_e32 v91, 3, v100
	v_sub_u16_e32 v94, v94, v93
	v_lshlrev_b32_e32 v92, 3, v105
	v_sub_u16_e32 v107, v90, v107
	v_lshlrev_b32_e32 v93, 3, v94
	v_lshlrev_b32_e32 v90, 3, v107
	global_load_dwordx2 v[132:133], v91, s[0:1] offset:192
	global_load_dwordx2 v[130:131], v93, s[0:1] offset:192
	;; [unrolled: 1-line block ×4, first 2 shown]
	v_accvgpr_read_b32 v92, a16
	v_lshrrev_b16_e32 v90, 2, v92
	v_mul_u32_u24_e32 v90, 0x4925, v90
	v_lshrrev_b32_e32 v108, 17, v90
	v_mul_lo_u16_e32 v90, 28, v108
	v_add_u16_e32 v91, 0x1f8, v174
	v_sub_u16_e32 v109, v92, v90
	v_lshrrev_b16_e32 v92, 2, v91
	v_mul_u32_u24_e32 v92, 0x4925, v92
	v_lshrrev_b32_e32 v110, 17, v92
	v_mul_lo_u16_e32 v92, 28, v110
	v_sub_u16_e32 v111, v91, v92
	v_add_u16_e32 v92, 0x230, v174
	v_lshrrev_b16_e32 v93, 2, v92
	v_mul_u32_u24_e32 v93, 0x4925, v93
	v_lshrrev_b32_e32 v112, 17, v93
	v_mul_lo_u16_e32 v93, 28, v112
	v_sub_u16_e32 v113, v92, v93
	v_add_u16_e32 v93, 0x268, v174
	v_lshrrev_b16_e32 v114, 2, v93
	v_mul_u32_u24_e32 v114, 0x4925, v114
	v_lshrrev_b32_e32 v114, 17, v114
	v_mul_lo_u16_e32 v115, 28, v114
	v_lshlrev_b32_e32 v90, 3, v109
	v_sub_u16_e32 v115, v93, v115
	v_lshlrev_b32_e32 v91, 3, v111
	v_lshlrev_b32_e32 v92, 3, v113
	;; [unrolled: 1-line block ×3, first 2 shown]
	global_load_dwordx2 v[140:141], v90, s[0:1] offset:192
	global_load_dwordx2 v[138:139], v91, s[0:1] offset:192
	;; [unrolled: 1-line block ×4, first 2 shown]
	v_add_u16_e32 v90, 0x2a0, v174
	v_lshrrev_b16_e32 v91, 2, v90
	v_mul_u32_u24_e32 v91, 0x4925, v91
	v_lshrrev_b32_e32 v116, 17, v91
	v_mul_lo_u16_e32 v91, 28, v116
	v_sub_u16_e32 v117, v90, v91
	v_add_u16_e32 v91, 0x2d8, v174
	v_lshrrev_b16_e32 v92, 2, v91
	v_mul_u32_u24_e32 v92, 0x4925, v92
	v_lshrrev_b32_e32 v118, 17, v92
	v_mul_lo_u16_e32 v92, 28, v118
	v_sub_u16_e32 v119, v91, v92
	;; [unrolled: 6-line block ×3, first 2 shown]
	v_add_u16_e32 v93, 0x348, v174
	v_lshrrev_b16_e32 v122, 2, v93
	v_mul_u32_u24_e32 v122, 0x4925, v122
	v_lshrrev_b32_e32 v122, 17, v122
	v_mul_lo_u16_e32 v123, 28, v122
	v_lshlrev_b32_e32 v90, 3, v117
	v_sub_u16_e32 v123, v93, v123
	v_lshlrev_b32_e32 v91, 3, v119
	v_lshlrev_b32_e32 v92, 3, v121
	v_lshlrev_b32_e32 v93, 3, v123
	global_load_dwordx2 v[148:149], v90, s[0:1] offset:192
	global_load_dwordx2 v[146:147], v91, s[0:1] offset:192
	;; [unrolled: 1-line block ×4, first 2 shown]
	s_waitcnt lgkmcnt(0)
	v_mov_b32_e32 v90, v5
	s_waitcnt vmcnt(12)
	v_pk_mul_f32 v[90:91], v[90:91], v[124:125] op_sel_hi:[0,1]
	v_pk_fma_f32 v[92:93], v[4:5], v[124:125], v[90:91] op_sel:[0,0,1] op_sel_hi:[1,1,0] neg_lo:[0,0,1] neg_hi:[0,0,1]
	v_pk_fma_f32 v[4:5], v[4:5], v[124:125], v[90:91] op_sel:[0,0,1] op_sel_hi:[0,1,0]
	v_mov_b32_e32 v93, v5
	v_pk_add_f32 v[4:5], v[6:7], v[92:93] neg_lo:[0,1] neg_hi:[0,1]
	v_cmp_lt_u16_e32 vcc, 27, v174
	v_accvgpr_write_b32 a127, v5
	v_accvgpr_write_b32 a126, v4
	v_cndmask_b32_e64 v4, 0, 56, vcc
	v_add_lshl_u32 v92, v98, v4, 3
	v_pk_mul_f32 v[4:5], v[14:15], v[252:253] op_sel:[0,1]
	s_nop 0
	v_pk_fma_f32 v[90:91], v[14:15], v[252:253], v[4:5] op_sel:[0,0,1] op_sel_hi:[1,1,0] neg_lo:[0,0,1] neg_hi:[0,0,1]
	v_pk_fma_f32 v[4:5], v[14:15], v[252:253], v[4:5] op_sel:[0,0,1] op_sel_hi:[1,0,0]
	; wave barrier
	s_nop 0
	v_mov_b32_e32 v91, v5
	v_pk_add_f32 v[4:5], v[80:81], v[90:91] neg_lo:[0,1] neg_hi:[0,1]
	v_accvgpr_write_b32 a124, v124
	v_pk_fma_f32 v[14:15], v[80:81], 2.0, v[4:5] op_sel_hi:[1,0,1] neg_lo:[0,0,1] neg_hi:[0,0,1]
	ds_write2_b64 v92, v[14:15], v[4:5] offset1:28
	v_pk_mul_f32 v[14:15], v[76:77], v[248:249] op_sel:[0,1]
	v_mov_b32_e32 v4, 56
	v_pk_fma_f32 v[80:81], v[76:77], v[248:249], v[14:15] op_sel:[0,0,1] op_sel_hi:[1,1,0] neg_lo:[0,0,1] neg_hi:[0,0,1]
	v_pk_fma_f32 v[14:15], v[76:77], v[248:249], v[14:15] op_sel:[0,0,1] op_sel_hi:[1,0,0]
	v_mul_u32_u24_sdwa v5, v85, v4 dst_sel:DWORD dst_unused:UNUSED_PAD src0_sel:BYTE_1 src1_sel:DWORD
	v_mov_b32_e32 v81, v15
	v_pk_add_f32 v[14:15], v[82:83], v[80:81] neg_lo:[0,1] neg_hi:[0,1]
	v_add_lshl_u32 v5, v5, v89, 3
	v_pk_fma_f32 v[76:77], v[82:83], 2.0, v[14:15] op_sel_hi:[1,0,1] neg_lo:[0,0,1] neg_hi:[0,0,1]
	ds_write2_b64 v5, v[76:77], v[14:15] offset1:28
	v_pk_mul_f32 v[14:15], v[78:79], v[246:247] op_sel:[0,1]
	v_accvgpr_write_b32 a137, v5
	v_pk_fma_f32 v[76:77], v[78:79], v[246:247], v[14:15] op_sel:[0,0,1] op_sel_hi:[1,1,0] neg_lo:[0,0,1] neg_hi:[0,0,1]
	v_pk_fma_f32 v[14:15], v[78:79], v[246:247], v[14:15] op_sel:[0,0,1] op_sel_hi:[1,0,0]
	v_mul_u32_u24_sdwa v5, v95, v4 dst_sel:DWORD dst_unused:UNUSED_PAD src0_sel:BYTE_1 src1_sel:DWORD
	v_mov_b32_e32 v77, v15
	v_pk_add_f32 v[14:15], v[72:73], v[76:77] neg_lo:[0,1] neg_hi:[0,1]
	v_add_lshl_u32 v5, v5, v96, 3
	v_pk_fma_f32 v[72:73], v[72:73], 2.0, v[14:15] op_sel_hi:[1,0,1] neg_lo:[0,0,1] neg_hi:[0,0,1]
	ds_write2_b64 v5, v[72:73], v[14:15] offset1:28
	v_pk_mul_f32 v[14:15], v[68:69], v[244:245] op_sel:[0,1]
	v_accvgpr_write_b32 a164, v5
	v_pk_fma_f32 v[72:73], v[68:69], v[244:245], v[14:15] op_sel:[0,0,1] op_sel_hi:[1,1,0] neg_lo:[0,0,1] neg_hi:[0,0,1]
	v_pk_fma_f32 v[14:15], v[68:69], v[244:245], v[14:15] op_sel:[0,0,1] op_sel_hi:[1,0,0]
	v_mul_u32_u24_sdwa v5, v97, v4 dst_sel:DWORD dst_unused:UNUSED_PAD src0_sel:BYTE_1 src1_sel:DWORD
	v_mov_b32_e32 v73, v15
	v_pk_add_f32 v[14:15], v[74:75], v[72:73] neg_lo:[0,1] neg_hi:[0,1]
	v_add_lshl_u32 v5, v5, v87, 3
	v_pk_fma_f32 v[68:69], v[74:75], 2.0, v[14:15] op_sel_hi:[1,0,1] neg_lo:[0,0,1] neg_hi:[0,0,1]
	ds_write2_b64 v5, v[68:69], v[14:15] offset1:28
	s_waitcnt vmcnt(11)
	v_pk_mul_f32 v[14:15], v[70:71], v[132:133] op_sel:[0,1]
	v_accvgpr_write_b32 a165, v5
	v_pk_fma_f32 v[68:69], v[70:71], v[132:133], v[14:15] op_sel:[0,0,1] op_sel_hi:[1,1,0] neg_lo:[0,0,1] neg_hi:[0,0,1]
	v_pk_fma_f32 v[14:15], v[70:71], v[132:133], v[14:15] op_sel:[0,0,1] op_sel_hi:[1,0,0]
	v_mad_legacy_u16 v5, v99, 56, v100
	v_mov_b32_e32 v69, v15
	v_pk_add_f32 v[14:15], v[64:65], v[68:69] neg_lo:[0,1] neg_hi:[0,1]
	v_lshlrev_b32_e32 v5, 3, v5
	v_pk_fma_f32 v[64:65], v[64:65], 2.0, v[14:15] op_sel_hi:[1,0,1] neg_lo:[0,0,1] neg_hi:[0,0,1]
	ds_write2_b64 v5, v[64:65], v[14:15] offset1:28
	s_waitcnt vmcnt(10)
	v_pk_mul_f32 v[14:15], v[60:61], v[130:131] op_sel:[0,1]
	v_accvgpr_write_b32 a166, v5
	v_pk_fma_f32 v[64:65], v[60:61], v[130:131], v[14:15] op_sel:[0,0,1] op_sel_hi:[1,1,0] neg_lo:[0,0,1] neg_hi:[0,0,1]
	v_pk_fma_f32 v[14:15], v[60:61], v[130:131], v[14:15] op_sel:[0,0,1] op_sel_hi:[1,0,0]
	v_mad_legacy_u16 v5, v101, 56, v94
	v_mov_b32_e32 v65, v15
	v_pk_add_f32 v[14:15], v[66:67], v[64:65] neg_lo:[0,1] neg_hi:[0,1]
	v_lshlrev_b32_e32 v5, 3, v5
	;; [unrolled: 11-line block ×12, first 2 shown]
	v_pk_fma_f32 v[16:17], v[22:23], 2.0, v[14:15] op_sel_hi:[1,0,1] neg_lo:[0,0,1] neg_hi:[0,0,1]
	ds_write2_b64 v5, v[16:17], v[14:15] offset1:28
	v_pk_mul_f32 v[14:15], v[18:19], v[126:127] op_sel:[0,1]
	v_accvgpr_write_b32 a178, v5
	v_pk_fma_f32 v[16:17], v[18:19], v[126:127], v[14:15] op_sel:[0,0,1] op_sel_hi:[1,1,0] neg_lo:[0,0,1] neg_hi:[0,0,1]
	v_pk_fma_f32 v[14:15], v[18:19], v[126:127], v[14:15] op_sel:[0,0,1] op_sel_hi:[1,0,0]
	v_mad_legacy_u16 v5, v104, 56, v103
	v_mov_b32_e32 v17, v15
	v_accvgpr_write_b32 a145, v133
	v_accvgpr_write_b32 a143, v131
	;; [unrolled: 1-line block ×11, first 2 shown]
	v_lshlrev_b32_e32 v5, 3, v5
	v_accvgpr_write_b32 a139, v127
	v_pk_add_f32 v[14:15], v[12:13], v[16:17] neg_lo:[0,1] neg_hi:[0,1]
	v_accvgpr_write_b32 a125, v125
	v_accvgpr_write_b32 a169, v92
	;; [unrolled: 1-line block ×14, first 2 shown]
	v_pk_fma_f32 v[12:13], v[12:13], 2.0, v[14:15] op_sel_hi:[1,0,1] neg_lo:[0,0,1] neg_hi:[0,0,1]
	v_accvgpr_write_b32 a179, v5
	ds_write2_b64 v5, v[12:13], v[14:15] offset1:28
	s_and_saveexec_b64 s[16:17], s[4:5]
	s_cbranch_execz .LBB0_11
; %bb.10:
	v_accvgpr_read_b32 v12, a126
	v_accvgpr_read_b32 v13, a127
	;; [unrolled: 1-line block ×3, first 2 shown]
	v_pk_fma_f32 v[6:7], v[6:7], 2.0, v[12:13] op_sel_hi:[1,0,1] neg_lo:[0,0,1] neg_hi:[0,0,1]
	v_add_u32_e32 v5, 0x3800, v5
	ds_write2_b64 v5, v[6:7], v[12:13] offset0:112 offset1:140
.LBB0_11:
	s_or_b64 exec, exec, s[16:17]
	v_mad_u64_u32 v[12:13], s[16:17], v174, 48, s[0:1]
	s_waitcnt lgkmcnt(0)
	; wave barrier
	s_waitcnt lgkmcnt(0)
	global_load_dwordx4 v[108:111], v[12:13], off offset:432
	global_load_dwordx4 v[112:115], v[12:13], off offset:448
	;; [unrolled: 1-line block ×3, first 2 shown]
	v_lshrrev_b16_e32 v5, 3, v88
	v_and_b32_e32 v5, 31, v5
	v_mul_lo_u16_e32 v5, 37, v5
	v_mul_lo_u16_sdwa v5, v5, v4 dst_sel:DWORD dst_unused:UNUSED_PAD src0_sel:BYTE_1 src1_sel:DWORD
	v_sub_u16_e32 v5, v88, v5
	v_and_b32_e32 v14, 0xff, v5
	v_lshrrev_b16_e32 v5, 3, v86
	v_and_b32_e32 v5, 31, v5
	v_mul_lo_u16_e32 v5, 37, v5
	v_mul_lo_u16_sdwa v5, v5, v4 dst_sel:DWORD dst_unused:UNUSED_PAD src0_sel:BYTE_1 src1_sel:DWORD
	v_sub_u16_e32 v5, v86, v5
	v_and_b32_e32 v15, 0xff, v5
	v_lshrrev_b16_e32 v5, 3, v84
	v_mad_u64_u32 v[12:13], s[16:17], v14, 48, s[0:1]
	v_mul_u32_u24_e32 v5, 0x2493, v5
	global_load_dwordx4 v[208:211], v[12:13], off offset:448
	global_load_dwordx4 v[32:35], v[12:13], off offset:432
	;; [unrolled: 1-line block ×3, first 2 shown]
	v_mad_u64_u32 v[12:13], s[16:17], v15, 48, s[0:1]
	v_mul_lo_u16_sdwa v4, v5, v4 dst_sel:DWORD dst_unused:UNUSED_PAD src0_sel:WORD_1 src1_sel:DWORD
	v_lshlrev_b32_e32 v6, 3, v174
	v_accvgpr_write_b32 a20, v174
	v_mov_b32_e32 v7, 0
	global_load_dwordx4 v[174:177], v[12:13], off offset:432
	global_load_dwordx4 v[24:27], v[12:13], off offset:448
	;; [unrolled: 1-line block ×3, first 2 shown]
	v_sub_u16_e32 v12, v84, v4
	v_lshl_add_u64 v[144:145], s[14:15], 0, v[6:7]
	v_mul_lo_u16_e32 v6, 48, v12
	v_lshl_add_u64 v[4:5], s[0:1], 0, v[6:7]
	global_load_dwordx4 v[178:181], v[4:5], off offset:432
	global_load_dwordx4 v[44:47], v[4:5], off offset:448
	;; [unrolled: 1-line block ×3, first 2 shown]
	v_add_u32_e32 v234, 0x400, v182
	v_add_u32_e32 v232, 0x1000, v182
	;; [unrolled: 1-line block ×9, first 2 shown]
	ds_read_b64 v[20:21], v182 offset:15232
	ds_read2_b64 v[76:79], v232 offset0:48 offset1:104
	ds_read2_b64 v[4:7], v227 offset0:16 offset1:72
	;; [unrolled: 1-line block ×14, first 2 shown]
	ds_read2_b64 v[64:67], v182 offset1:56
	s_mov_b32 s20, 0x3eae86e6
	s_mov_b32 s21, 0xbf08b237
	;; [unrolled: 1-line block ×12, first 2 shown]
	v_add_u32_e32 v242, 0x3800, v182
	s_waitcnt vmcnt(10) lgkmcnt(11)
	v_mul_f32_e32 v16, v103, v113
	s_waitcnt vmcnt(9) lgkmcnt(1)
	v_pk_mul_f32 v[134:135], v[30:31], v[56:57] op_sel_hi:[1,0]
	v_mul_f32_e32 v39, v41, v110
	v_mul_f32_e32 v129, v40, v111
	;; [unrolled: 1-line block ×3, first 2 shown]
	v_pk_fma_f32 v[138:139], v[30:31], v[56:57], v[134:135] op_sel:[0,1,1] op_sel_hi:[1,1,0]
	v_pk_fma_f32 v[30:31], v[30:31], v[56:57], v[134:135] op_sel:[0,1,1] op_sel_hi:[1,1,0] neg_lo:[1,0,0] neg_hi:[1,0,0]
	v_mov_b32_e32 v134, v77
	v_mov_b32_e32 v135, v40
	;; [unrolled: 1-line block ×7, first 2 shown]
	v_pk_mul_f32 v[40:41], v[76:77], v[40:41]
	v_mul_f32_e32 v23, v7, v108
	v_mul_f32_e32 v37, v6, v109
	v_fma_f32 v22, v76, v58, -v13
	v_pk_fma_f32 v[76:77], v[134:135], v[58:59], v[40:41]
	v_pk_fma_f32 v[40:41], v[134:135], v[140:141], v[40:41] neg_lo:[0,0,1] neg_hi:[0,0,1]
	v_mov_b32_e32 v134, v103
	v_mov_b32_e32 v135, v6
	;; [unrolled: 1-line block ×7, first 2 shown]
	v_pk_mul_f32 v[6:7], v[102:103], v[6:7]
	v_fma_f32 v36, v102, v112, -v16
	v_pk_fma_f32 v[102:103], v[134:135], v[112:113], v[6:7]
	v_pk_fma_f32 v[6:7], v[134:135], v[250:251], v[6:7] neg_lo:[0,0,1] neg_hi:[0,0,1]
	v_pk_mul_f32 v[134:135], v[52:53], v[114:115] op_sel_hi:[1,0]
	v_mov_b32_e32 v6, v115
	v_pk_fma_f32 v[140:141], v[52:53], v[6:7], v[134:135] op_sel:[0,0,1] op_sel_hi:[1,0,0]
	v_pk_fma_f32 v[52:53], v[52:53], v[6:7], v[134:135] op_sel:[0,0,1] op_sel_hi:[1,0,0] neg_lo:[1,0,0] neg_hi:[1,0,0]
	v_mov_b32_e32 v139, v31
	v_mov_b32_e32 v77, v41
	;; [unrolled: 1-line block ×6, first 2 shown]
	v_pk_add_f32 v[152:153], v[22:23], v[36:37]
	v_pk_add_f32 v[154:155], v[138:139], v[140:141]
	;; [unrolled: 1-line block ×4, first 2 shown]
	v_mov_b32_e32 v39, v22
	v_mov_b32_e32 v38, v31
	;; [unrolled: 1-line block ×8, first 2 shown]
	v_pk_add_f32 v[156:157], v[138:139], v[140:141] neg_lo:[0,1] neg_hi:[0,1]
	v_pk_add_f32 v[22:23], v[38:39], v[22:23] neg_lo:[0,1] neg_hi:[0,1]
	v_pk_add_f32 v[128:129], v[152:153], v[30:31]
	v_pk_add_f32 v[6:7], v[6:7], v[40:41]
	v_pk_add_f32 v[76:77], v[76:77], v[102:103] neg_lo:[0,1] neg_hi:[0,1]
	v_mov_b32_e32 v52, v22
	v_mov_b32_e32 v53, v157
	;; [unrolled: 1-line block ×6, first 2 shown]
	v_pk_add_f32 v[52:53], v[52:53], v[76:77] neg_lo:[0,1] neg_hi:[0,1]
	v_pk_add_f32 v[40:41], v[40:41], v[152:153] neg_lo:[0,1] neg_hi:[0,1]
	v_mov_b32_e32 v31, v129
	v_mov_b32_e32 v134, v6
	;; [unrolled: 1-line block ×3, first 2 shown]
	v_pk_add_f32 v[6:7], v[128:129], v[6:7]
	v_pk_add_f32 v[36:37], v[36:37], v[22:23] neg_lo:[0,1] neg_hi:[0,1]
	v_pk_mul_f32 v[52:53], v[52:53], s[22:23]
	v_pk_add_f32 v[102:103], v[76:77], v[22:23]
	v_pk_add_f32 v[138:139], v[30:31], v[134:135] neg_lo:[0,1] neg_hi:[0,1]
	s_waitcnt lgkmcnt(0)
	v_pk_add_f32 v[134:135], v[64:65], v[6:7]
	v_pk_mul_f32 v[40:41], v[40:41], s[26:27]
	v_pk_mul_f32 v[38:39], v[36:37], s[20:21]
	v_pk_add_f32 v[102:103], v[102:103], v[156:157]
	v_pk_fma_f32 v[6:7], v[6:7], s[24:25], v[134:135] op_sel_hi:[1,0,1] neg_lo:[1,0,0] neg_hi:[1,0,0]
	v_pk_fma_f32 v[128:129], v[138:139], s[28:29], v[40:41]
	v_pk_fma_f32 v[36:37], v[36:37], s[20:21], v[52:53]
	v_pk_mul_f32 v[64:65], v[138:139], s[28:29]
	v_pk_add_f32 v[128:129], v[128:129], v[6:7]
	v_pk_fma_f32 v[36:37], v[102:103], s[14:15], v[36:37] op_sel_hi:[1,0,1]
	v_mov_b32_e32 v77, v23
	v_mov_b32_e32 v153, v158
	;; [unrolled: 1-line block ×3, first 2 shown]
	s_waitcnt vmcnt(6)
	v_mul_f32_e32 v13, v81, v215
	v_pk_add_f32 v[138:139], v[128:129], v[36:37]
	v_pk_add_f32 v[140:141], v[128:129], v[36:37] neg_lo:[0,1] neg_hi:[0,1]
	v_pk_add_f32 v[22:23], v[76:77], v[156:157] neg_lo:[0,1] neg_hi:[0,1]
	;; [unrolled: 1-line block ×3, first 2 shown]
	v_mov_b32_e32 v36, v64
	v_mov_b32_e32 v37, v41
	;; [unrolled: 1-line block ×6, first 2 shown]
	v_fma_f32 v146, v80, v214, -v13
	s_waitcnt vmcnt(3)
	v_mul_f32_e32 v13, v83, v195
	v_pk_fma_f32 v[36:37], v[30:31], s[18:19], v[36:37] op_sel_hi:[1,0,1] neg_lo:[1,0,1] neg_hi:[1,0,1]
	v_pk_fma_f32 v[76:77], v[22:23], s[16:17], v[76:77] op_sel_hi:[1,0,1] neg_lo:[1,0,1] neg_hi:[1,0,1]
	;; [unrolled: 1-line block ×4, first 2 shown]
	v_fma_f32 v168, v82, v194, -v13
	v_mul_f32_e32 v13, v89, v25
	v_pk_add_f32 v[36:37], v[36:37], v[6:7]
	v_pk_add_f32 v[6:7], v[30:31], v[6:7]
	v_pk_fma_f32 v[22:23], v[102:103], s[14:15], v[22:23] op_sel_hi:[1,0,1]
	v_fma_f32 v170, v88, v24, -v13
	s_waitcnt vmcnt(0)
	v_mul_f32_e32 v13, v5, v199
	v_pk_add_f32 v[158:159], v[6:7], v[22:23] neg_lo:[0,1] neg_hi:[0,1]
	v_pk_add_f32 v[156:157], v[6:7], v[22:23]
	v_mov_b32_e32 v7, v5
	v_mov_b32_e32 v5, v199
	v_fma_f32 v133, v4, v198, -v13
	v_mov_b32_e32 v30, v95
	v_mov_b32_e32 v31, v4
	;; [unrolled: 1-line block ×3, first 2 shown]
	v_accvgpr_write_b32 a119, v5
	v_mov_b32_e32 v6, v94
	v_mov_b32_e32 v22, v178
	;; [unrolled: 1-line block ×3, first 2 shown]
	v_accvgpr_write_b32 a118, v4
	v_pk_mul_f32 v[4:5], v[30:31], v[4:5]
	v_mov_b32_e32 v163, v178
	v_pk_fma_f32 v[30:31], v[94:95], v[22:23], v[4:5] neg_lo:[0,0,1] neg_hi:[0,0,1]
	v_pk_fma_f32 v[4:5], v[6:7], v[22:23], v[4:5]
	v_mov_b32_e32 v22, v99
	v_mov_b32_e32 v23, v94
	;; [unrolled: 1-line block ×3, first 2 shown]
	v_mul_f32_e32 v18, v61, v113
	v_mov_b32_e32 v19, v44
	v_pk_fma_f32 v[76:77], v[102:103], s[14:15], v[76:77] op_sel_hi:[1,0,1]
	v_mov_b32_e32 v6, v98
	v_mov_b32_e32 v7, v95
	;; [unrolled: 1-line block ×3, first 2 shown]
	v_pk_mul_f32 v[22:23], v[22:23], v[178:179]
	v_fma_f32 v125, v60, v112, -v18
	v_mov_b32_e32 v18, v181
	v_pk_add_f32 v[152:153], v[36:37], v[76:77]
	v_pk_add_f32 v[154:155], v[36:37], v[76:77] neg_lo:[0,1] neg_hi:[0,1]
	v_pk_fma_f32 v[36:37], v[6:7], v[162:163], v[22:23] neg_lo:[0,0,1] neg_hi:[0,0,1]
	v_pk_fma_f32 v[6:7], v[6:7], v[162:163], v[22:23]
	v_mov_b32_e32 v22, v101
	v_mov_b32_e32 v23, v91
	v_accvgpr_write_b32 a99, v19
	v_mul_f32_e32 v13, v91, v45
	v_mul_f32_e32 v160, v20, v47
	v_accvgpr_write_b32 a98, v18
	v_pk_mul_f32 v[22:23], v[22:23], v[18:19]
	v_mov_b32_e32 v38, v100
	v_mov_b32_e32 v39, v90
	v_mov_b32_e32 v18, v180
	v_mov_b32_e32 v19, v45
	v_fma_f32 v137, v90, v44, -v13
	v_fmac_f32_e32 v160, v21, v46
	v_pk_fma_f32 v[90:91], v[100:101], v[180:181], v[22:23] neg_lo:[0,0,1] neg_hi:[0,0,1]
	v_pk_fma_f32 v[22:23], v[38:39], v[18:19], v[22:23]
	v_mov_b32_e32 v38, v20
	v_mov_b32_e32 v39, v100
	v_mov_b32_e32 v100, v21
	v_mov_b32_e32 v20, v47
	v_mov_b32_e32 v21, v180
	v_mov_b32_e32 v40, v46
	v_mov_b32_e32 v41, v181
	v_pk_mul_f32 v[20:21], v[100:101], v[20:21]
	v_mul_f32_e32 v130, v98, v197
	v_pk_fma_f32 v[64:65], v[38:39], v[40:41], v[20:21] neg_lo:[0,0,1] neg_hi:[0,0,1]
	v_pk_fma_f32 v[20:21], v[38:39], v[40:41], v[20:21]
	v_fmac_f32_e32 v130, v99, v196
	v_mov_b32_e32 v31, v5
	v_mov_b32_e32 v37, v7
	;; [unrolled: 1-line block ×4, first 2 shown]
	v_add_f32_e32 v107, v130, v160
	v_add_f32_e32 v104, v133, v137
	v_mov_b32_e32 v161, v64
	v_mov_b32_e32 v132, v5
	v_pk_add_f32 v[76:77], v[30:31], v[90:91]
	v_pk_add_f32 v[64:65], v[36:37], v[64:65]
	v_mov_b32_e32 v4, v21
	v_mov_b32_e32 v5, v90
	;; [unrolled: 1-line block ×4, first 2 shown]
	v_pk_add_f32 v[4:5], v[4:5], v[6:7] neg_lo:[0,1] neg_hi:[0,1]
	v_add_f32_e32 v6, v104, v64
	v_add_f32_e32 v21, v77, v107
	v_mov_b32_e32 v106, v76
	v_mov_b32_e32 v105, v65
	;; [unrolled: 1-line block ×6, first 2 shown]
	v_pk_add_f32 v[22:23], v[106:107], v[104:105] neg_lo:[0,1] neg_hi:[0,1]
	v_pk_add_f32 v[6:7], v[6:7], v[20:21]
	v_pk_add_f32 v[40:41], v[130:131], v[160:161] neg_lo:[0,1] neg_hi:[0,1]
	v_pk_add_f32 v[52:53], v[132:133], v[136:137] neg_lo:[0,1] neg_hi:[0,1]
	;; [unrolled: 1-line block ×3, first 2 shown]
	v_pk_add_f32 v[136:137], v[28:29], v[6:7]
	v_pk_mul_f32 v[130:131], v[22:23], s[26:27]
	v_pk_add_f32 v[36:37], v[4:5], v[52:53]
	v_mov_b32_e32 v38, v4
	v_mov_b32_e32 v39, v41
	v_mov_b32_e32 v90, v52
	v_mov_b32_e32 v91, v5
	v_pk_mul_f32 v[132:133], v[30:31], s[28:29]
	v_pk_fma_f32 v[102:103], v[6:7], s[24:25], v[136:137] op_sel_hi:[1,0,1] neg_lo:[1,0,0] neg_hi:[1,0,0]
	v_pk_fma_f32 v[6:7], v[30:31], s[28:29], v[130:131]
	ds_read2_b64 v[28:31], v242 offset1:56
	v_mul_f32_e32 v165, v87, v176
	v_mul_f32_e32 v173, v86, v177
	v_pk_add_f32 v[38:39], v[38:39], v[90:91] neg_lo:[0,1] neg_hi:[0,1]
	v_pk_add_f32 v[98:99], v[36:37], v[40:41]
	v_mov_b32_e32 v36, v83
	v_mov_b32_e32 v37, v86
	;; [unrolled: 1-line block ×5, first 2 shown]
	v_pk_mul_f32 v[128:129], v[38:39], s[22:23]
	v_mov_b32_e32 v38, v194
	v_mov_b32_e32 v39, v176
	v_pk_mul_f32 v[82:83], v[82:83], v[86:87]
	v_pk_mul_f32 v[20:21], v[96:97], v[192:193] op_sel_hi:[1,0]
	v_pk_fma_f32 v[166:167], v[36:37], v[194:195], v[82:83]
	v_pk_fma_f32 v[36:37], v[36:37], v[38:39], v[82:83] neg_lo:[0,0,1] neg_hi:[0,0,1]
	v_mov_b32_e32 v38, v89
	v_mov_b32_e32 v89, v93
	;; [unrolled: 1-line block ×4, first 2 shown]
	v_pk_fma_f32 v[22:23], v[96:97], v[192:193], v[20:21] op_sel:[0,1,1] op_sel_hi:[1,1,0]
	v_pk_fma_f32 v[20:21], v[96:97], v[192:193], v[20:21] op_sel:[0,1,1] op_sel_hi:[1,1,0] neg_lo:[1,0,0] neg_hi:[1,0,0]
	v_mov_b32_e32 v39, v92
	v_mov_b32_e32 v82, v24
	;; [unrolled: 1-line block ×3, first 2 shown]
	v_pk_mul_f32 v[86:87], v[88:89], v[86:87]
	v_mov_b32_e32 v20, v27
	v_pk_fma_f32 v[88:89], v[38:39], v[24:25], v[86:87]
	v_pk_fma_f32 v[38:39], v[38:39], v[82:83], v[86:87] neg_lo:[0,0,1] neg_hi:[0,0,1]
	s_waitcnt lgkmcnt(0)
	v_pk_mul_f32 v[82:83], v[30:31], v[26:27] op_sel_hi:[1,0]
	v_mul_f32_e32 v169, v93, v174
	v_mul_f32_e32 v171, v92, v175
	v_pk_fma_f32 v[92:93], v[30:31], v[20:21], v[82:83] op_sel:[0,0,1] op_sel_hi:[1,0,0]
	v_pk_fma_f32 v[30:31], v[30:31], v[20:21], v[82:83] op_sel:[0,0,1] op_sel_hi:[1,0,0] neg_lo:[1,0,0] neg_hi:[1,0,0]
	v_mov_b32_e32 v164, v21
	v_mov_b32_e32 v172, v31
	v_accvgpr_write_b32 a100, v162
	v_mov_b32_e32 v90, v40
	v_mov_b32_e32 v5, v53
	v_pk_add_f32 v[160:161], v[168:169], v[170:171]
	v_mov_b32_e32 v23, v21
	v_mov_b32_e32 v93, v31
	v_pk_add_f32 v[164:165], v[164:165], v[172:173]
	v_accvgpr_write_b32 a101, v163
	v_pk_add_f32 v[4:5], v[90:91], v[4:5] neg_lo:[0,1] neg_hi:[0,1]
	v_pk_add_f32 v[86:87], v[22:23], v[92:93]
	v_pk_add_f32 v[162:163], v[22:23], v[92:93] neg_lo:[0,1] neg_hi:[0,1]
	v_mov_b32_e32 v20, v165
	v_mov_b32_e32 v21, v168
	;; [unrolled: 1-line block ×4, first 2 shown]
	v_pk_mul_f32 v[100:101], v[4:5], s[20:21]
	v_pk_fma_f32 v[4:5], v[4:5], s[20:21], v[128:129]
	v_mov_b32_e32 v167, v37
	v_mov_b32_e32 v89, v39
	v_pk_add_f32 v[172:173], v[20:21], v[22:23] neg_lo:[0,1] neg_hi:[0,1]
	v_pk_add_f32 v[6:7], v[6:7], v[102:103]
	v_pk_fma_f32 v[4:5], v[98:99], s[14:15], v[4:5] op_sel_hi:[1,0,1]
	v_pk_add_f32 v[96:97], v[166:167], v[88:89]
	v_pk_add_f32 v[166:167], v[166:167], v[88:89] neg_lo:[0,1] neg_hi:[0,1]
	v_mov_b32_e32 v22, v172
	v_mov_b32_e32 v23, v163
	v_pk_add_f32 v[90:91], v[6:7], v[4:5] neg_lo:[0,1] neg_hi:[0,1]
	v_pk_add_f32 v[94:95], v[6:7], v[4:5]
	ds_read2_b64 v[4:7], v182 offset0:112 offset1:168
	v_pk_add_f32 v[22:23], v[22:23], v[166:167] neg_lo:[0,1] neg_hi:[0,1]
	v_mov_b32_e32 v30, v39
	v_pk_mul_f32 v[92:93], v[22:23], s[22:23]
	v_pk_add_f32 v[22:23], v[166:167], v[172:173]
	v_mov_b32_e32 v31, v96
	v_mov_b32_e32 v36, v37
	;; [unrolled: 1-line block ×3, first 2 shown]
	v_pk_add_f32 v[88:89], v[22:23], v[162:163]
	v_pk_add_f32 v[22:23], v[160:161], v[164:165]
	;; [unrolled: 1-line block ×3, first 2 shown]
	v_mov_b32_e32 v161, v23
	v_mov_b32_e32 v36, v30
	v_accvgpr_write_b32 a86, v178
	v_accvgpr_write_b32 a80, v174
	v_mov_b32_e32 v20, v162
	v_mov_b32_e32 v21, v167
	v_pk_add_f32 v[36:37], v[36:37], v[160:161] neg_lo:[0,1] neg_hi:[0,1]
	v_mov_b32_e32 v165, v23
	v_mov_b32_e32 v38, v30
	;; [unrolled: 1-line block ×3, first 2 shown]
	v_pk_add_f32 v[22:23], v[22:23], v[30:31]
	v_accvgpr_write_b32 a87, v179
	v_accvgpr_write_b32 a88, v180
	;; [unrolled: 1-line block ×5, first 2 shown]
	v_pk_add_f32 v[20:21], v[20:21], v[172:173] neg_lo:[0,1] neg_hi:[0,1]
	v_pk_add_f32 v[38:39], v[164:165], v[38:39] neg_lo:[0,1] neg_hi:[0,1]
	s_waitcnt lgkmcnt(0)
	v_pk_add_f32 v[180:181], v[6:7], v[22:23]
	v_pk_mul_f32 v[176:177], v[36:37], s[26:27]
	v_pk_mul_f32 v[82:83], v[20:21], s[20:21]
	v_pk_fma_f32 v[174:175], v[22:23], s[24:25], v[180:181] op_sel_hi:[1,0,1] neg_lo:[1,0,0] neg_hi:[1,0,0]
	v_pk_fma_f32 v[6:7], v[38:39], s[28:29], v[176:177]
	v_pk_fma_f32 v[20:21], v[20:21], s[20:21], v[92:93]
	v_pk_mul_f32 v[178:179], v[38:39], s[28:29]
	v_pk_add_f32 v[6:7], v[6:7], v[174:175]
	v_pk_fma_f32 v[20:21], v[88:89], s[14:15], v[20:21] op_sel_hi:[1,0,1]
	v_mov_b32_e32 v30, v81
	v_mov_b32_e32 v81, v85
	;; [unrolled: 1-line block ×4, first 2 shown]
	v_pk_add_f32 v[168:169], v[6:7], v[20:21]
	v_pk_add_f32 v[170:171], v[6:7], v[20:21] neg_lo:[0,1] neg_hi:[0,1]
	v_pk_mul_f32 v[6:7], v[70:71], v[212:213] op_sel_hi:[1,0]
	v_mov_b32_e32 v31, v84
	v_mov_b32_e32 v36, v214
	;; [unrolled: 1-line block ×3, first 2 shown]
	v_pk_mul_f32 v[38:39], v[80:81], v[38:39]
	v_mul_f32_e32 v147, v75, v32
	v_mul_f32_e32 v143, v74, v33
	;; [unrolled: 1-line block ×3, first 2 shown]
	v_pk_fma_f32 v[22:23], v[70:71], v[212:213], v[6:7] op_sel:[0,1,1] op_sel_hi:[1,1,0]
	v_pk_fma_f32 v[6:7], v[70:71], v[212:213], v[6:7] op_sel:[0,1,1] op_sel_hi:[1,1,0] neg_lo:[1,0,0] neg_hi:[1,0,0]
	v_pk_fma_f32 v[70:71], v[30:31], v[214:215], v[38:39]
	v_pk_fma_f32 v[30:31], v[30:31], v[36:37], v[38:39] neg_lo:[0,0,1] neg_hi:[0,0,1]
	v_mov_b32_e32 v36, v63
	v_mov_b32_e32 v37, v74
	;; [unrolled: 1-line block ×5, first 2 shown]
	v_fma_f32 v142, v62, v208, -v16
	v_mov_b32_e32 v38, v208
	v_mov_b32_e32 v39, v32
	v_pk_mul_f32 v[62:63], v[62:63], v[74:75]
	v_mov_b32_e32 v6, v211
	v_pk_fma_f32 v[74:75], v[36:37], v[208:209], v[62:63]
	v_pk_fma_f32 v[36:37], v[36:37], v[38:39], v[62:63] neg_lo:[0,0,1] neg_hi:[0,0,1]
	v_pk_mul_f32 v[38:39], v[28:29], v[210:211] op_sel_hi:[1,0]
	v_mul_f32_e32 v149, v85, v34
	v_pk_fma_f32 v[62:63], v[28:29], v[6:7], v[38:39] op_sel:[0,0,1] op_sel_hi:[1,0,0]
	v_pk_fma_f32 v[28:29], v[28:29], v[6:7], v[38:39] op_sel:[0,0,1] op_sel_hi:[1,0,0] neg_lo:[1,0,0] neg_hi:[1,0,0]
	v_mul_f32_e32 v151, v84, v35
	v_mov_b32_e32 v23, v7
	v_mov_b32_e32 v71, v31
	;; [unrolled: 1-line block ×6, first 2 shown]
	v_pk_add_f32 v[20:21], v[146:147], v[142:143]
	v_pk_add_f32 v[38:39], v[22:23], v[62:63]
	v_pk_add_f32 v[22:23], v[22:23], v[62:63] neg_lo:[0,1] neg_hi:[0,1]
	v_pk_add_f32 v[62:63], v[70:71], v[74:75]
	v_pk_add_f32 v[6:7], v[148:149], v[150:151]
	v_pk_add_f32 v[70:71], v[70:71], v[74:75] neg_lo:[0,1] neg_hi:[0,1]
	v_mov_b32_e32 v28, v7
	v_mov_b32_e32 v29, v146
	;; [unrolled: 1-line block ×8, first 2 shown]
	v_pk_add_f32 v[28:29], v[28:29], v[74:75] neg_lo:[0,1] neg_hi:[0,1]
	v_pk_add_f32 v[146:147], v[20:21], v[6:7]
	v_pk_add_f32 v[30:31], v[36:37], v[30:31]
	v_mov_b32_e32 v84, v28
	v_mov_b32_e32 v85, v23
	;; [unrolled: 1-line block ×7, first 2 shown]
	v_pk_add_f32 v[84:85], v[84:85], v[70:71] neg_lo:[0,1] neg_hi:[0,1]
	v_pk_add_f32 v[36:37], v[36:37], v[20:21] neg_lo:[0,1] neg_hi:[0,1]
	v_mov_b32_e32 v7, v147
	v_mov_b32_e32 v148, v30
	;; [unrolled: 1-line block ×3, first 2 shown]
	v_pk_add_f32 v[30:31], v[146:147], v[30:31]
	v_pk_add_f32 v[74:75], v[74:75], v[28:29] neg_lo:[0,1] neg_hi:[0,1]
	v_pk_mul_f32 v[84:85], v[84:85], s[22:23]
	v_pk_add_f32 v[142:143], v[70:71], v[28:29]
	v_pk_add_f32 v[148:149], v[6:7], v[148:149] neg_lo:[0,1] neg_hi:[0,1]
	v_pk_add_f32 v[4:5], v[4:5], v[30:31]
	v_pk_mul_f32 v[36:37], v[36:37], s[26:27]
	v_pk_mul_f32 v[80:81], v[74:75], s[20:21]
	v_pk_add_f32 v[142:143], v[142:143], v[22:23]
	v_pk_mul_f32 v[146:147], v[148:149], s[28:29]
	v_pk_fma_f32 v[30:31], v[30:31], s[24:25], v[4:5] op_sel_hi:[1,0,1] neg_lo:[1,0,0] neg_hi:[1,0,0]
	v_pk_fma_f32 v[148:149], v[148:149], s[28:29], v[36:37]
	v_pk_fma_f32 v[74:75], v[74:75], s[20:21], v[84:85]
	v_mul_f32_e32 v17, v79, v59
	v_accvgpr_write_b32 a90, v192
	v_pk_add_f32 v[148:149], v[148:149], v[30:31]
	v_pk_fma_f32 v[74:75], v[142:143], s[14:15], v[74:75] op_sel_hi:[1,0,1]
	v_fma_f32 v123, v78, v58, -v17
	v_accvgpr_write_b32 a91, v193
	v_accvgpr_write_b32 a92, v194
	;; [unrolled: 1-line block ×3, first 2 shown]
	v_pk_add_f32 v[150:151], v[148:149], v[74:75]
	v_pk_add_f32 v[74:75], v[148:149], v[74:75] neg_lo:[0,1] neg_hi:[0,1]
	v_mov_b32_e32 v149, v79
	v_mov_b32_e32 v194, v73
	;; [unrolled: 1-line block ×5, first 2 shown]
	v_mul_f32_e32 v120, v68, v57
	v_mov_b32_e32 v148, v72
	v_mov_b32_e32 v192, v108
	;; [unrolled: 1-line block ×3, first 2 shown]
	v_pk_mul_f32 v[78:79], v[194:195], v[78:79]
	v_fmac_f32_e32 v120, v69, v56
	v_pk_fma_f32 v[194:195], v[72:73], v[108:109], v[78:79] neg_lo:[0,0,1] neg_hi:[0,0,1]
	v_pk_fma_f32 v[78:79], v[148:149], v[192:193], v[78:79]
	v_mov_b32_e32 v148, v68
	v_mov_b32_e32 v68, v69
	;; [unrolled: 1-line block ×4, first 2 shown]
	v_accvgpr_write_b32 a94, v196
	v_mov_b32_e32 v149, v73
	v_mov_b32_e32 v250, v56
	v_pk_mul_f32 v[68:69], v[68:69], v[108:109]
	v_accvgpr_write_b32 a95, v197
	v_accvgpr_write_b32 a96, v198
	;; [unrolled: 1-line block ×3, first 2 shown]
	v_pk_fma_f32 v[72:73], v[148:149], v[250:251], v[68:69] neg_lo:[0,0,1] neg_hi:[0,0,1]
	v_pk_fma_f32 v[68:69], v[148:149], v[250:251], v[68:69]
	v_mov_b32_e32 v149, v61
	v_mov_b32_e32 v196, v43
	;; [unrolled: 1-line block ×5, first 2 shown]
	v_mul_f32_e32 v126, v54, v115
	v_mov_b32_e32 v148, v42
	v_mov_b32_e32 v192, v110
	v_mov_b32_e32 v193, v112
	v_pk_mul_f32 v[60:61], v[196:197], v[60:61]
	v_fmac_f32_e32 v126, v55, v114
	v_accvgpr_write_b32 a121, v19
	v_pk_fma_f32 v[196:197], v[42:43], v[110:111], v[60:61] neg_lo:[0,0,1] neg_hi:[0,0,1]
	v_pk_fma_f32 v[60:61], v[148:149], v[192:193], v[60:61]
	v_mov_b32_e32 v148, v54
	v_mov_b32_e32 v149, v43
	;; [unrolled: 1-line block ×6, first 2 shown]
	v_accvgpr_write_b32 a120, v18
	v_mov_b32_e32 v18, v114
	v_mov_b32_e32 v19, v110
	v_pk_mul_f32 v[42:43], v[54:55], v[42:43]
	v_mov_b32_e32 v73, v69
	v_pk_fma_f32 v[54:55], v[148:149], v[18:19], v[42:43] neg_lo:[0,0,1] neg_hi:[0,0,1]
	v_pk_fma_f32 v[42:43], v[148:149], v[18:19], v[42:43]
	v_mov_b32_e32 v121, v72
	v_mov_b32_e32 v55, v43
	;; [unrolled: 1-line block ×9, first 2 shown]
	v_add_f32_e32 v119, v120, v126
	v_mov_b32_e32 v195, v79
	v_mov_b32_e32 v197, v61
	v_pk_add_f32 v[120:121], v[120:121], v[126:127] neg_lo:[0,1] neg_hi:[0,1]
	v_pk_add_f32 v[60:61], v[122:123], v[124:125] neg_lo:[0,1] neg_hi:[0,1]
	;; [unrolled: 1-line block ×3, first 2 shown]
	v_add_f32_e32 v116, v123, v125
	v_pk_add_f32 v[78:79], v[194:195], v[196:197]
	v_pk_add_f32 v[54:55], v[72:73], v[54:55]
	v_mov_b32_e32 v148, v42
	v_mov_b32_e32 v149, v121
	v_mov_b32_e32 v192, v60
	v_mov_b32_e32 v193, v43
	v_add_f32_e32 v68, v116, v54
	v_add_f32_e32 v73, v79, v119
	v_mov_b32_e32 v118, v78
	v_mov_b32_e32 v117, v55
	v_pk_add_f32 v[126:127], v[42:43], v[60:61]
	v_pk_add_f32 v[148:149], v[148:149], v[192:193] neg_lo:[0,1] neg_hi:[0,1]
	v_mov_b32_e32 v192, v120
	v_mov_b32_e32 v43, v61
	;; [unrolled: 1-line block ×4, first 2 shown]
	v_pk_add_f32 v[122:123], v[118:119], v[116:117] neg_lo:[0,1] neg_hi:[0,1]
	v_pk_add_f32 v[124:125], v[54:55], v[78:79] neg_lo:[0,1] neg_hi:[0,1]
	;; [unrolled: 1-line block ×3, first 2 shown]
	v_pk_add_f32 v[68:69], v[68:69], v[72:73]
	v_pk_add_f32 v[72:73], v[126:127], v[120:121]
	v_pk_add_f32 v[66:67], v[66:67], v[68:69]
	v_pk_mul_f32 v[122:123], v[122:123], s[26:27]
	v_pk_mul_f32 v[126:127], v[124:125], s[28:29]
	;; [unrolled: 1-line block ×4, first 2 shown]
	v_mov_b32_e32 v117, v79
	v_mov_b32_e32 v55, v119
	v_pk_fma_f32 v[68:69], v[68:69], s[24:25], v[66:67] op_sel_hi:[1,0,1] neg_lo:[1,0,0] neg_hi:[1,0,0]
	v_pk_fma_f32 v[124:125], v[124:125], s[28:29], v[122:123]
	v_pk_fma_f32 v[42:43], v[42:43], s[20:21], v[148:149]
	v_pk_add_f32 v[54:55], v[116:117], v[54:55] neg_lo:[0,1] neg_hi:[0,1]
	v_pk_add_f32 v[60:61], v[60:61], v[120:121] neg_lo:[0,1] neg_hi:[0,1]
	v_mov_b32_e32 v78, v126
	v_mov_b32_e32 v79, v123
	;; [unrolled: 1-line block ×4, first 2 shown]
	v_pk_add_f32 v[124:125], v[124:125], v[68:69]
	v_pk_fma_f32 v[42:43], v[72:73], s[14:15], v[42:43] op_sel_hi:[1,0,1]
	v_pk_fma_f32 v[78:79], v[54:55], s[18:19], v[78:79] op_sel_hi:[1,0,1] neg_lo:[1,0,1] neg_hi:[1,0,1]
	v_pk_fma_f32 v[116:117], v[60:61], s[16:17], v[116:117] op_sel_hi:[1,0,1] neg_lo:[1,0,1] neg_hi:[1,0,1]
	v_pk_add_f32 v[194:195], v[124:125], v[42:43] neg_lo:[0,1] neg_hi:[0,1]
	v_pk_add_f32 v[42:43], v[124:125], v[42:43]
	v_mov_b32_e32 v124, v138
	v_mov_b32_e32 v125, v141
	v_pk_add_f32 v[78:79], v[78:79], v[68:69]
	v_pk_fma_f32 v[116:117], v[72:73], s[14:15], v[116:117] op_sel_hi:[1,0,1]
	v_mov_b32_e32 v123, v127
	v_mov_b32_e32 v149, v193
	s_waitcnt lgkmcnt(0)
	; wave barrier
	ds_write2_b64 v182, v[134:135], v[124:125] offset1:56
	v_mov_b32_e32 v124, v152
	v_mov_b32_e32 v125, v155
	;; [unrolled: 1-line block ×7, first 2 shown]
	v_pk_add_f32 v[118:119], v[78:79], v[116:117] neg_lo:[0,1] neg_hi:[0,1]
	v_pk_add_f32 v[78:79], v[78:79], v[116:117]
	v_pk_fma_f32 v[54:55], v[54:55], s[18:19], v[122:123] op_sel_hi:[1,0,1] neg_lo:[0,0,1] neg_hi:[0,0,1]
	v_pk_fma_f32 v[60:61], v[60:61], s[16:17], v[148:149] op_sel_hi:[1,0,1] neg_lo:[0,0,1] neg_hi:[0,0,1]
	ds_write2_b64 v182, v[124:125], v[134:135] offset0:112 offset1:168
	ds_write2_b64 v234, v[156:157], v[154:155] offset0:96 offset1:152
	;; [unrolled: 1-line block ×3, first 2 shown]
	v_mov_b32_e32 v66, v42
	v_mov_b32_e32 v67, v195
	;; [unrolled: 1-line block ×4, first 2 shown]
	v_pk_add_f32 v[54:55], v[54:55], v[68:69]
	v_pk_fma_f32 v[60:61], v[72:73], s[14:15], v[60:61] op_sel_hi:[1,0,1]
	v_lshlrev_b32_e32 v16, 3, v14
	ds_write2_b64 v229, v[66:67], v[116:117] offset0:192 offset1:248
	v_pk_add_f32 v[66:67], v[54:55], v[60:61]
	v_pk_add_f32 v[54:55], v[54:55], v[60:61] neg_lo:[0,1] neg_hi:[0,1]
	v_lshlrev_b32_e32 v13, 3, v12
	v_mov_b32_e32 v60, v54
	v_mov_b32_e32 v61, v67
	;; [unrolled: 1-line block ×7, first 2 shown]
	v_add_u32_e32 v12, 0x1800, v16
	v_mov_b32_e32 v71, v29
	v_mov_b32_e32 v21, v62
	;; [unrolled: 1-line block ×3, first 2 shown]
	ds_write2_b64 v232, v[60:61], v[66:67] offset0:48 offset1:104
	ds_write2_b64 v232, v[118:119], v[194:195] offset0:160 offset1:216
	ds_write2_b64 v12, v[4:5], v[42:43] offset0:16 offset1:72
	v_pk_add_f32 v[4:5], v[70:71], v[22:23] neg_lo:[0,1] neg_hi:[0,1]
	v_pk_add_f32 v[6:7], v[20:21], v[6:7] neg_lo:[0,1] neg_hi:[0,1]
	v_mov_b32_e32 v20, v146
	v_mov_b32_e32 v21, v37
	;; [unrolled: 1-line block ×6, first 2 shown]
	v_pk_fma_f32 v[20:21], v[6:7], s[18:19], v[20:21] op_sel_hi:[1,0,1] neg_lo:[1,0,1] neg_hi:[1,0,1]
	v_pk_fma_f32 v[22:23], v[4:5], s[16:17], v[22:23] op_sel_hi:[1,0,1] neg_lo:[1,0,1] neg_hi:[1,0,1]
	;; [unrolled: 1-line block ×4, first 2 shown]
	v_pk_add_f32 v[20:21], v[20:21], v[30:31]
	v_pk_fma_f32 v[22:23], v[142:143], s[14:15], v[22:23] op_sel_hi:[1,0,1]
	v_pk_add_f32 v[6:7], v[6:7], v[30:31]
	v_pk_fma_f32 v[4:5], v[142:143], s[14:15], v[4:5] op_sel_hi:[1,0,1]
	v_pk_add_f32 v[28:29], v[20:21], v[22:23]
	v_pk_add_f32 v[20:21], v[20:21], v[22:23] neg_lo:[0,1] neg_hi:[0,1]
	v_pk_add_f32 v[30:31], v[6:7], v[4:5] neg_lo:[0,1] neg_hi:[0,1]
	v_pk_add_f32 v[4:5], v[6:7], v[4:5]
	v_mov_b32_e32 v22, v28
	v_mov_b32_e32 v23, v21
	;; [unrolled: 1-line block ×4, first 2 shown]
	v_lshlrev_b32_e32 v14, 3, v15
	ds_write2_b64 v12, v[22:23], v[6:7] offset0:128 offset1:184
	v_mov_b32_e32 v5, v31
	v_mov_b32_e32 v21, v29
	v_add_u32_e32 v6, 0x1c00, v16
	ds_write2_b64 v6, v[4:5], v[20:21] offset0:112 offset1:168
	v_mov_b32_e32 v4, v168
	v_mov_b32_e32 v5, v171
	v_add_u32_e32 v6, 0x2000, v14
	v_mov_b32_e32 v167, v173
	v_mov_b32_e32 v161, v96
	;; [unrolled: 1-line block ×3, first 2 shown]
	ds_write2_b64 v6, v[180:181], v[4:5] offset0:152 offset1:208
	v_pk_add_f32 v[4:5], v[166:167], v[162:163] neg_lo:[0,1] neg_hi:[0,1]
	v_pk_add_f32 v[6:7], v[160:161], v[164:165] neg_lo:[0,1] neg_hi:[0,1]
	v_mov_b32_e32 v20, v178
	v_mov_b32_e32 v21, v177
	;; [unrolled: 1-line block ×6, first 2 shown]
	v_pk_fma_f32 v[20:21], v[6:7], s[18:19], v[20:21] op_sel_hi:[1,0,1] neg_lo:[1,0,1] neg_hi:[1,0,1]
	v_pk_fma_f32 v[22:23], v[4:5], s[16:17], v[22:23] op_sel_hi:[1,0,1] neg_lo:[1,0,1] neg_hi:[1,0,1]
	;; [unrolled: 1-line block ×4, first 2 shown]
	v_pk_add_f32 v[20:21], v[20:21], v[174:175]
	v_pk_fma_f32 v[22:23], v[88:89], s[14:15], v[22:23] op_sel_hi:[1,0,1]
	v_pk_add_f32 v[6:7], v[6:7], v[174:175]
	v_pk_fma_f32 v[4:5], v[88:89], s[14:15], v[4:5] op_sel_hi:[1,0,1]
	v_pk_add_f32 v[28:29], v[20:21], v[22:23]
	v_pk_add_f32 v[20:21], v[20:21], v[22:23] neg_lo:[0,1] neg_hi:[0,1]
	v_pk_add_f32 v[30:31], v[6:7], v[4:5] neg_lo:[0,1] neg_hi:[0,1]
	v_pk_add_f32 v[4:5], v[6:7], v[4:5]
	v_mov_b32_e32 v22, v28
	v_mov_b32_e32 v23, v21
	;; [unrolled: 1-line block ×4, first 2 shown]
	v_add_u32_e32 v12, 0x2800, v14
	v_mov_b32_e32 v5, v31
	v_mov_b32_e32 v21, v29
	ds_write2_b64 v12, v[22:23], v[6:7] offset0:8 offset1:64
	ds_write2_b64 v12, v[4:5], v[20:21] offset0:120 offset1:176
	v_mov_b32_e32 v4, v94
	v_mov_b32_e32 v5, v91
	v_add_u32_e32 v12, 0x3000, v13
	v_mov_b32_e32 v105, v77
	v_mov_b32_e32 v65, v107
	ds_write2_b64 v12, v[136:137], v[4:5] offset0:32 offset1:88
	v_pk_add_f32 v[4:5], v[104:105], v[64:65] neg_lo:[0,1] neg_hi:[0,1]
	v_pk_add_f32 v[6:7], v[52:53], v[40:41] neg_lo:[0,1] neg_hi:[0,1]
	v_mov_b32_e32 v20, v132
	v_mov_b32_e32 v21, v131
	;; [unrolled: 1-line block ×6, first 2 shown]
	v_pk_fma_f32 v[20:21], v[4:5], s[18:19], v[20:21] op_sel_hi:[1,0,1] neg_lo:[1,0,1] neg_hi:[1,0,1]
	v_pk_fma_f32 v[22:23], v[6:7], s[16:17], v[22:23] op_sel_hi:[1,0,1] neg_lo:[1,0,1] neg_hi:[1,0,1]
	;; [unrolled: 1-line block ×4, first 2 shown]
	v_pk_add_f32 v[20:21], v[20:21], v[102:103]
	v_pk_fma_f32 v[22:23], v[98:99], s[14:15], v[22:23] op_sel_hi:[1,0,1]
	v_pk_add_f32 v[4:5], v[4:5], v[102:103]
	v_pk_fma_f32 v[6:7], v[98:99], s[14:15], v[6:7] op_sel_hi:[1,0,1]
	v_pk_add_f32 v[28:29], v[20:21], v[22:23] neg_lo:[0,1] neg_hi:[0,1]
	v_pk_add_f32 v[20:21], v[20:21], v[22:23]
	v_pk_add_f32 v[30:31], v[4:5], v[6:7]
	v_pk_add_f32 v[4:5], v[4:5], v[6:7] neg_lo:[0,1] neg_hi:[0,1]
	v_accvgpr_write_b32 a75, v27
	v_mov_b32_e32 v75, v151
	v_mov_b32_e32 v171, v169
	;; [unrolled: 1-line block ×8, first 2 shown]
	v_add_u32_e32 v4, 0x3800, v13
	v_mov_b32_e32 v91, v95
	v_accvgpr_write_b32 a74, v26
	v_accvgpr_write_b32 a73, v25
	;; [unrolled: 1-line block ×4, first 2 shown]
	ds_write_b64 v16, v[74:75] offset:8960
	v_accvgpr_write_b32 a21, v14
	ds_write_b64 v14, v[170:171] offset:12096
	ds_write2_b64 v12, v[22:23], v[6:7] offset0:144 offset1:200
	ds_write2_b64 v4, v[30:31], v[28:29] offset1:56
	ds_write_b64 v13, v[90:91] offset:15232
	s_waitcnt lgkmcnt(0)
	; wave barrier
	s_waitcnt lgkmcnt(0)
	global_load_dwordx4 v[14:17], v225, s[0:1] offset:3104
	global_load_dwordx4 v[24:27], v225, s[0:1] offset:3120
	v_lshlrev_b32_e32 v4, 3, v185
	global_load_dwordx4 v[104:107], v4, s[0:1] offset:3104
	global_load_dwordx4 v[100:103], v4, s[0:1] offset:3120
	v_lshlrev_b32_e32 v4, 3, v184
	;; [unrolled: 3-line block ×4, first 2 shown]
	ds_read2_b64 v[140:143], v232 offset0:160 offset1:216
	ds_read2_b64 v[132:135], v230 offset0:96 offset1:152
	;; [unrolled: 1-line block ×3, first 2 shown]
	global_load_dwordx4 v[76:79], v4, s[0:1] offset:3120
	global_load_dwordx4 v[80:83], v4, s[0:1] offset:3104
	;; [unrolled: 1-line block ×4, first 2 shown]
	v_lshlrev_b32_e32 v4, 3, v188
	global_load_dwordx4 v[60:63], v4, s[0:1] offset:3120
	global_load_dwordx4 v[64:67], v4, s[0:1] offset:3104
	ds_read_b64 v[36:37], v182 offset:15232
	ds_read2_b64 v[116:119], v229 offset0:80 offset1:136
	v_accvgpr_write_b32 a102, v208
	v_accvgpr_write_b32 a103, v209
	v_accvgpr_write_b32 a104, v210
	v_accvgpr_write_b32 a105, v211
	s_waitcnt lgkmcnt(1)
	v_mov_b32_e32 v38, v37
	v_mov_b32_e32 v39, v142
	;; [unrolled: 1-line block ×6, first 2 shown]
	v_accvgpr_write_b32 a110, v212
	s_mov_b32 s0, 0x3f737871
	v_accvgpr_write_b32 a111, v213
	v_accvgpr_write_b32 a112, v214
	;; [unrolled: 1-line block ×3, first 2 shown]
	s_movk_i32 s15, 0x3000
	s_mov_b32 s14, 0x3f167918
	v_accvgpr_write_b32 a181, v19
	s_mov_b32 s16, 0x3e9e377a
	v_accvgpr_write_b32 a180, v18
	v_mov_b32_e32 v196, v132
	v_mov_b32_e32 v199, v133
	;; [unrolled: 1-line block ×4, first 2 shown]
	v_accvgpr_write_b32 a79, v47
	v_accvgpr_write_b32 a17, v13
	;; [unrolled: 1-line block ×6, first 2 shown]
	s_waitcnt vmcnt(13)
	v_mul_f32_e32 v180, v142, v14
	s_waitcnt vmcnt(12)
	v_pk_mul_f32 v[4:5], v[36:37], v[26:27] op_sel:[1,0] op_sel_hi:[0,1]
	v_mov_b32_e32 v4, v5
	v_pk_fma_f32 v[146:147], v[36:37], v[26:27], v[4:5] op_sel:[1,0,0] op_sel_hi:[0,1,1]
	ds_read2_b64 v[120:123], v182 offset1:56
	ds_read2_b64 v[4:7], v227 offset0:16 offset1:72
	ds_read2_b64 v[20:23], v231 offset0:32 offset1:88
	s_waitcnt vmcnt(11) lgkmcnt(3)
	v_pk_mul_f32 v[28:29], v[118:119], v[104:105] op_sel:[0,1]
	ds_read2_b64 v[126:129], v235 offset0:80 offset1:136
	v_pk_fma_f32 v[194:195], v[118:119], v[104:105], v[28:29] op_sel:[0,0,1] op_sel_hi:[1,1,0] neg_lo:[0,0,1] neg_hi:[0,0,1]
	v_pk_fma_f32 v[28:29], v[118:119], v[104:105], v[28:29] op_sel:[0,0,1] op_sel_hi:[1,0,0]
	v_mov_b32_e32 v37, v143
	v_mov_b32_e32 v28, v107
	;; [unrolled: 1-line block ×3, first 2 shown]
	s_waitcnt lgkmcnt(2)
	v_pk_mul_f32 v[28:29], v[4:5], v[28:29] op_sel_hi:[1,0]
	v_mul_f32_e32 v192, v143, v15
	v_pk_fma_f32 v[200:201], v[4:5], v[106:107], v[28:29] op_sel:[0,0,1] op_sel_hi:[1,1,0] neg_lo:[0,0,1] neg_hi:[0,0,1]
	v_pk_fma_f32 v[4:5], v[4:5], v[106:107], v[28:29] op_sel:[0,0,1] op_sel_hi:[1,0,0]
	ds_read2_b64 v[28:31], v229 offset0:192 offset1:248
	v_mov_b32_e32 v201, v5
	s_waitcnt vmcnt(10)
	v_pk_mul_f32 v[4:5], v[134:135], v[100:101] op_sel:[0,1]
	v_mov_b32_e32 v18, v17
	v_pk_fma_f32 v[204:205], v[134:135], v[100:101], v[4:5] op_sel:[0,0,1] op_sel_hi:[1,1,0] neg_lo:[0,0,1] neg_hi:[0,0,1]
	v_pk_fma_f32 v[4:5], v[134:135], v[100:101], v[4:5] op_sel:[0,0,1] op_sel_hi:[1,0,0]
	v_mov_b32_e32 v19, v24
	v_mov_b32_e32 v4, v103
	;; [unrolled: 1-line block ×3, first 2 shown]
	s_waitcnt lgkmcnt(2)
	v_pk_mul_f32 v[4:5], v[20:21], v[4:5] op_sel_hi:[1,0]
	v_mov_b32_e32 v52, v25
	v_pk_fma_f32 v[210:211], v[20:21], v[102:103], v[4:5] op_sel:[0,0,1] op_sel_hi:[1,1,0] neg_lo:[0,0,1] neg_hi:[0,0,1]
	v_pk_fma_f32 v[4:5], v[20:21], v[102:103], v[4:5] op_sel:[0,0,1] op_sel_hi:[1,0,0]
	v_mov_b32_e32 v214, v25
	v_mov_b32_e32 v211, v5
	v_pk_add_f32 v[4:5], v[120:121], v[194:195]
	v_mov_b32_e32 v215, v16
	v_pk_add_f32 v[4:5], v[4:5], v[200:201]
	v_accvgpr_write_b32 a117, v19
	v_pk_add_f32 v[4:5], v[4:5], v[204:205]
	v_accvgpr_write_b32 a108, v16
	v_pk_add_f32 v[40:41], v[4:5], v[210:211]
	s_waitcnt vmcnt(9) lgkmcnt(0)
	v_pk_mul_f32 v[4:5], v[28:29], v[96:97] op_sel:[0,1]
	v_accvgpr_write_b32 a115, v27
	v_pk_fma_f32 v[150:151], v[28:29], v[96:97], v[4:5] op_sel:[0,0,1] op_sel_hi:[1,1,0] neg_lo:[0,0,1] neg_hi:[0,0,1]
	v_pk_fma_f32 v[4:5], v[28:29], v[96:97], v[4:5] op_sel:[0,0,1] op_sel_hi:[1,0,0]
	s_waitcnt vmcnt(7)
	v_pk_mul_f32 v[28:29], v[30:31], v[88:89] op_sel:[0,1]
	v_mov_b32_e32 v4, v99
	v_mov_b32_e32 v151, v5
	v_pk_mul_f32 v[4:5], v[6:7], v[4:5] op_sel_hi:[1,0]
	v_pk_fma_f32 v[148:149], v[30:31], v[88:89], v[28:29] op_sel:[0,0,1] op_sel_hi:[1,1,0] neg_lo:[0,0,1] neg_hi:[0,0,1]
	v_pk_fma_f32 v[154:155], v[6:7], v[98:99], v[4:5] op_sel:[0,0,1] op_sel_hi:[1,1,0] neg_lo:[0,0,1] neg_hi:[0,0,1]
	v_pk_fma_f32 v[4:5], v[6:7], v[98:99], v[4:5] op_sel:[0,0,1] op_sel_hi:[1,0,0]
	v_pk_fma_f32 v[28:29], v[30:31], v[88:89], v[28:29] op_sel:[0,0,1] op_sel_hi:[1,0,0]
	v_mov_b32_e32 v155, v5
	v_pk_mul_f32 v[4:5], v[126:127], v[92:93] op_sel:[0,1]
	v_mov_b32_e32 v28, v91
	v_pk_fma_f32 v[158:159], v[126:127], v[92:93], v[4:5] op_sel:[0,0,1] op_sel_hi:[1,1,0] neg_lo:[0,0,1] neg_hi:[0,0,1]
	v_pk_fma_f32 v[4:5], v[126:127], v[92:93], v[4:5] op_sel:[0,0,1] op_sel_hi:[1,0,0]
	v_mov_b32_e32 v149, v29
	v_mov_b32_e32 v4, v95
	;; [unrolled: 1-line block ×3, first 2 shown]
	v_pk_mul_f32 v[4:5], v[22:23], v[4:5] op_sel_hi:[1,0]
	v_accvgpr_write_b32 a116, v18
	v_pk_fma_f32 v[164:165], v[22:23], v[94:95], v[4:5] op_sel:[0,0,1] op_sel_hi:[1,1,0] neg_lo:[0,0,1] neg_hi:[0,0,1]
	v_pk_fma_f32 v[4:5], v[22:23], v[94:95], v[4:5] op_sel:[0,0,1] op_sel_hi:[1,0,0]
	v_accvgpr_write_b32 a122, v25
	v_mov_b32_e32 v165, v5
	v_pk_add_f32 v[4:5], v[122:123], v[150:151]
	v_accvgpr_write_b32 a107, v15
	v_pk_add_f32 v[4:5], v[4:5], v[154:155]
	v_accvgpr_write_b32 a106, v14
	;; [unrolled: 2-line block ×3, first 2 shown]
	v_pk_add_f32 v[42:43], v[4:5], v[164:165]
	ds_read2_b64 v[124:127], v182 offset0:112 offset1:168
	ds_read2_b64 v[4:7], v227 offset0:128 offset1:184
	;; [unrolled: 1-line block ×4, first 2 shown]
	s_waitcnt lgkmcnt(2)
	v_pk_mul_f32 v[28:29], v[4:5], v[28:29] op_sel_hi:[1,0]
	s_nop 0
	v_pk_fma_f32 v[152:153], v[4:5], v[90:91], v[28:29] op_sel:[0,0,1] op_sel_hi:[1,1,0] neg_lo:[0,0,1] neg_hi:[0,0,1]
	v_pk_fma_f32 v[4:5], v[4:5], v[90:91], v[28:29] op_sel:[0,0,1] op_sel_hi:[1,0,0]
	ds_read2_b64 v[28:31], v232 offset0:48 offset1:104
	v_mov_b32_e32 v153, v5
	s_waitcnt vmcnt(6)
	v_pk_mul_f32 v[4:5], v[128:129], v[84:85] op_sel:[0,1]
	s_nop 0
	v_pk_fma_f32 v[156:157], v[128:129], v[84:85], v[4:5] op_sel:[0,0,1] op_sel_hi:[1,1,0] neg_lo:[0,0,1] neg_hi:[0,0,1]
	v_pk_fma_f32 v[4:5], v[128:129], v[84:85], v[4:5] op_sel:[0,0,1] op_sel_hi:[1,0,0]
	s_nop 0
	v_mov_b32_e32 v4, v87
	v_mov_b32_e32 v157, v5
	s_waitcnt lgkmcnt(2)
	v_pk_mul_f32 v[4:5], v[20:21], v[4:5] op_sel_hi:[1,0]
	s_nop 0
	v_pk_fma_f32 v[162:163], v[20:21], v[86:87], v[4:5] op_sel:[0,0,1] op_sel_hi:[1,1,0] neg_lo:[0,0,1] neg_hi:[0,0,1]
	v_pk_fma_f32 v[4:5], v[20:21], v[86:87], v[4:5] op_sel:[0,0,1] op_sel_hi:[1,0,0]
	s_nop 0
	v_mov_b32_e32 v163, v5
	v_pk_add_f32 v[4:5], v[124:125], v[148:149]
	s_nop 0
	v_pk_add_f32 v[4:5], v[4:5], v[152:153]
	s_nop 0
	;; [unrolled: 2-line block ×3, first 2 shown]
	v_pk_add_f32 v[188:189], v[4:5], v[162:163]
	s_waitcnt vmcnt(4) lgkmcnt(0)
	v_pk_mul_f32 v[4:5], v[28:29], v[80:81] op_sel:[0,1]
	s_nop 0
	v_pk_fma_f32 v[160:161], v[28:29], v[80:81], v[4:5] op_sel:[0,0,1] op_sel_hi:[1,1,0] neg_lo:[0,0,1] neg_hi:[0,0,1]
	v_pk_fma_f32 v[4:5], v[28:29], v[80:81], v[4:5] op_sel:[0,0,1] op_sel_hi:[1,0,0]
	s_nop 0
	v_mov_b32_e32 v4, v83
	v_mov_b32_e32 v161, v5
	v_pk_mul_f32 v[4:5], v[6:7], v[4:5] op_sel_hi:[1,0]
	s_nop 0
	v_pk_fma_f32 v[166:167], v[6:7], v[82:83], v[4:5] op_sel:[0,0,1] op_sel_hi:[1,1,0] neg_lo:[0,0,1] neg_hi:[0,0,1]
	v_pk_fma_f32 v[4:5], v[6:7], v[82:83], v[4:5] op_sel:[0,0,1] op_sel_hi:[1,0,0]
	v_mov_b32_e32 v6, v27
	v_mov_b32_e32 v167, v5
	v_pk_mul_f32 v[4:5], v[174:175], v[76:77] op_sel:[0,1]
	v_mov_b32_e32 v7, v15
	v_pk_fma_f32 v[168:169], v[174:175], v[76:77], v[4:5] op_sel:[0,0,1] op_sel_hi:[1,1,0] neg_lo:[0,0,1] neg_hi:[0,0,1]
	v_pk_fma_f32 v[4:5], v[174:175], v[76:77], v[4:5] op_sel:[0,0,1] op_sel_hi:[1,0,0]
	v_pk_mul_f32 v[6:7], v[38:39], v[6:7]
	v_mov_b32_e32 v4, v79
	v_mov_b32_e32 v169, v5
	v_pk_mul_f32 v[4:5], v[22:23], v[4:5] op_sel_hi:[1,0]
	s_waitcnt vmcnt(2)
	v_pk_mul_f32 v[38:39], v[30:31], v[72:73] op_sel:[0,1]
	v_pk_fma_f32 v[170:171], v[22:23], v[78:79], v[4:5] op_sel:[0,0,1] op_sel_hi:[1,1,0] neg_lo:[0,0,1] neg_hi:[0,0,1]
	v_pk_fma_f32 v[4:5], v[22:23], v[78:79], v[4:5] op_sel:[0,0,1] op_sel_hi:[1,0,0]
	v_pk_fma_f32 v[142:143], v[30:31], v[72:73], v[38:39] op_sel:[0,0,1] op_sel_hi:[1,1,0] neg_lo:[0,0,1] neg_hi:[0,0,1]
	v_mov_b32_e32 v171, v5
	v_pk_add_f32 v[4:5], v[126:127], v[160:161]
	v_pk_fma_f32 v[30:31], v[30:31], v[72:73], v[38:39] op_sel:[0,0,1] op_sel_hi:[1,0,0]
	v_pk_add_f32 v[4:5], v[4:5], v[166:167]
	v_mov_b32_e32 v30, v75
	v_pk_add_f32 v[4:5], v[4:5], v[168:169]
	v_mov_b32_e32 v143, v31
	;; [unrolled: 2-line block ×3, first 2 shown]
	v_mov_b32_e32 v5, v14
	v_pk_fma_f32 v[118:119], v[36:37], v[4:5], v[6:7] neg_lo:[0,0,1] neg_hi:[0,0,1]
	v_pk_fma_f32 v[134:135], v[36:37], v[4:5], v[6:7]
	ds_read2_b64 v[128:131], v234 offset0:96 offset1:152
	ds_read2_b64 v[4:7], v233 offset0:112 offset1:168
	ds_read2_b64 v[20:23], v242 offset1:56
	v_pk_add_f32 v[208:209], v[160:161], v[170:171] neg_lo:[0,1] neg_hi:[0,1]
	ds_write2_b64 v182, v[40:41], v[42:43] offset1:56
	ds_write2_b64 v182, v[188:189], v[28:29] offset0:112 offset1:168
	v_pk_add_f32 v[212:213], v[166:167], v[168:169] neg_lo:[0,1] neg_hi:[0,1]
	s_waitcnt lgkmcnt(3)
	v_pk_mul_f32 v[30:31], v[4:5], v[30:31] op_sel_hi:[1,0]
	v_pk_add_f32 v[28:29], v[170:171], v[168:169] neg_lo:[0,1] neg_hi:[0,1]
	v_pk_fma_f32 v[172:173], v[4:5], v[74:75], v[30:31] op_sel:[0,0,1] op_sel_hi:[1,1,0] neg_lo:[0,0,1] neg_hi:[0,0,1]
	v_pk_fma_f32 v[4:5], v[4:5], v[74:75], v[30:31] op_sel:[0,0,1] op_sel_hi:[1,0,0]
	v_mov_b32_e32 v119, v135
	v_mov_b32_e32 v173, v5
	v_pk_mul_f32 v[4:5], v[176:177], v[68:69] op_sel:[0,1]
	v_mov_b32_e32 v40, v135
	v_pk_fma_f32 v[174:175], v[176:177], v[68:69], v[4:5] op_sel:[0,0,1] op_sel_hi:[1,1,0] neg_lo:[0,0,1] neg_hi:[0,0,1]
	v_pk_fma_f32 v[4:5], v[176:177], v[68:69], v[4:5] op_sel:[0,0,1] op_sel_hi:[1,0,0]
	v_mov_b32_e32 v41, v146
	v_mov_b32_e32 v4, v71
	;; [unrolled: 1-line block ×3, first 2 shown]
	s_waitcnt lgkmcnt(2)
	v_pk_mul_f32 v[4:5], v[20:21], v[4:5] op_sel_hi:[1,0]
	v_mov_b32_e32 v37, 0x3f737871
	v_pk_fma_f32 v[184:185], v[20:21], v[70:71], v[4:5] op_sel:[0,0,1] op_sel_hi:[1,1,0] neg_lo:[0,0,1] neg_hi:[0,0,1]
	v_pk_fma_f32 v[4:5], v[20:21], v[70:71], v[4:5] op_sel:[0,0,1] op_sel_hi:[1,0,0]
	v_pk_add_f32 v[20:21], v[128:129], v[142:143]
	v_mov_b32_e32 v185, v5
	s_waitcnt vmcnt(0)
	v_pk_mul_f32 v[4:5], v[140:141], v[64:65] op_sel:[0,1]
	v_pk_add_f32 v[20:21], v[20:21], v[172:173]
	v_pk_fma_f32 v[138:139], v[140:141], v[64:65], v[4:5] op_sel:[0,0,1] op_sel_hi:[1,1,0] neg_lo:[0,0,1] neg_hi:[0,0,1]
	v_pk_fma_f32 v[4:5], v[140:141], v[64:65], v[4:5] op_sel:[0,0,1] op_sel_hi:[1,0,0]
	v_pk_add_f32 v[20:21], v[20:21], v[174:175]
	v_mov_b32_e32 v4, v67
	v_mov_b32_e32 v139, v5
	v_pk_mul_f32 v[4:5], v[6:7], v[4:5] op_sel_hi:[1,0]
	v_pk_add_f32 v[178:179], v[20:21], v[184:185]
	v_pk_fma_f32 v[140:141], v[6:7], v[66:67], v[4:5] op_sel:[0,0,1] op_sel_hi:[1,1,0] neg_lo:[0,0,1] neg_hi:[0,0,1]
	v_pk_fma_f32 v[4:5], v[6:7], v[66:67], v[4:5] op_sel:[0,0,1] op_sel_hi:[1,0,0]
	v_pk_mul_f32 v[6:7], v[208:209], s[0:1] op_sel_hi:[1,0]
	v_mov_b32_e32 v141, v5
	v_pk_mul_f32 v[4:5], v[136:137], v[60:61] op_sel:[0,1]
	v_pk_mul_f32 v[20:21], v[212:213], s[14:15] op_sel_hi:[1,0]
	v_pk_fma_f32 v[176:177], v[136:137], v[60:61], v[4:5] op_sel:[0,0,1] op_sel_hi:[1,1,0] neg_lo:[0,0,1] neg_hi:[0,0,1]
	v_pk_fma_f32 v[4:5], v[136:137], v[60:61], v[4:5] op_sel:[0,0,1] op_sel_hi:[1,0,0]
	v_mov_b32_e32 v36, v118
	v_mov_b32_e32 v4, v63
	;; [unrolled: 1-line block ×3, first 2 shown]
	v_pk_mul_f32 v[4:5], v[22:23], v[4:5] op_sel_hi:[1,0]
	v_add_f32_e32 v12, v135, v146
	v_pk_fma_f32 v[136:137], v[22:23], v[62:63], v[4:5] op_sel:[0,0,1] op_sel_hi:[1,1,0] neg_lo:[0,0,1] neg_hi:[0,0,1]
	v_pk_fma_f32 v[4:5], v[22:23], v[62:63], v[4:5] op_sel:[0,0,1] op_sel_hi:[1,0,0]
	v_pk_add_f32 v[22:23], v[160:161], v[166:167] neg_lo:[0,1] neg_hi:[0,1]
	v_mov_b32_e32 v137, v5
	v_pk_add_f32 v[4:5], v[130:131], v[138:139]
	v_pk_add_f32 v[22:23], v[22:23], v[28:29]
	;; [unrolled: 1-line block ×3, first 2 shown]
	v_fma_f32 v12, -0.5, v12, v117
	v_pk_add_f32 v[4:5], v[4:5], v[176:177]
	s_nop 0
	v_pk_add_f32 v[190:191], v[4:5], v[136:137]
	v_pk_add_f32 v[4:5], v[166:167], v[168:169]
	s_nop 0
	v_pk_fma_f32 v[4:5], v[4:5], 0.5, v[126:127] op_sel_hi:[1,0,1] neg_lo:[1,0,0] neg_hi:[1,0,0]
	s_nop 0
	v_pk_add_f32 v[28:29], v[4:5], v[6:7] op_sel:[0,1] op_sel_hi:[1,0]
	v_pk_add_f32 v[4:5], v[4:5], v[6:7] op_sel:[0,1] op_sel_hi:[1,0] neg_lo:[0,1] neg_hi:[0,1]
	v_pk_add_f32 v[6:7], v[28:29], v[20:21] op_sel:[0,1] op_sel_hi:[1,0]
	v_pk_add_f32 v[4:5], v[4:5], v[20:21] op_sel:[0,1] op_sel_hi:[1,0] neg_lo:[0,1] neg_hi:[0,1]
	v_mov_b32_e32 v20, v6
	v_mov_b32_e32 v21, v5
	;; [unrolled: 1-line block ×3, first 2 shown]
	v_pk_fma_f32 v[4:5], v[22:23], s[16:17], v[4:5] op_sel_hi:[1,0,1]
	ds_write_b64 v182, v[4:5] offset:13888
	v_pk_mul_f32 v[4:5], v[196:197], v[18:19]
	v_pk_fma_f32 v[20:21], v[22:23], s[16:17], v[20:21] op_sel_hi:[1,0,1]
	v_pk_fma_f32 v[6:7], v[198:199], v[52:53], v[4:5] op_sel:[0,0,1] op_sel_hi:[1,1,0] neg_lo:[1,0,0] neg_hi:[1,0,0]
	v_pk_fma_f32 v[188:189], v[198:199], v[214:215], v[4:5] op_sel:[0,0,1] op_sel_hi:[1,1,0]
	v_mov_b32_e32 v5, v24
	v_mov_b32_e32 v24, v17
	ds_write_b64 v182, v[20:21] offset:4480
	v_mov_b32_e32 v4, v16
	v_pk_mul_f32 v[20:21], v[218:219], v[24:25]
	v_mov_b32_e32 v193, v6
	v_pk_fma_f32 v[22:23], v[132:133], v[4:5], v[20:21] neg_lo:[0,0,1] neg_hi:[0,0,1]
	v_pk_fma_f32 v[132:133], v[216:217], v[4:5], v[20:21]
	v_mov_b32_e32 v181, v22
	v_mov_b32_e32 v7, v189
	;; [unrolled: 1-line block ×5, first 2 shown]
	v_pk_add_f32 v[196:197], v[180:181], v[192:193] neg_lo:[0,1] neg_hi:[0,1]
	v_pk_add_f32 v[4:5], v[6:7], v[22:23] neg_lo:[0,1] neg_hi:[0,1]
	v_pk_add_f32 v[28:29], v[22:23], v[6:7]
	v_pk_add_f32 v[30:31], v[118:119], v[6:7] neg_lo:[0,1] neg_hi:[0,1]
	v_pk_add_f32 v[38:39], v[38:39], v[40:41] neg_lo:[0,1] neg_hi:[0,1]
	v_add_f32_e32 v7, v196, v118
	v_add_f32_e32 v4, v38, v39
	v_mul_f32_e32 v147, 0.5, v7
	v_mov_b32_e32 v38, v135
	v_mov_b32_e32 v39, v116
	v_mov_b32_e32 v40, v196
	v_mov_b32_e32 v132, v6
	v_pk_add_f32 v[38:39], v[38:39], v[146:147] neg_lo:[0,1] neg_hi:[0,1]
	v_pk_add_f32 v[40:41], v[40:41], v[22:23] neg_lo:[0,1] neg_hi:[0,1]
	v_mov_b32_e32 v23, v6
	v_mov_b32_e32 v6, v196
	;; [unrolled: 1-line block ×3, first 2 shown]
	v_mul_f32_e32 v21, 0x3f737871, v5
	v_mov_b32_e32 v188, v22
	v_pk_add_f32 v[6:7], v[22:23], v[6:7] neg_lo:[0,1] neg_hi:[0,1]
	v_mov_b32_e32 v20, 0x3f167918
	v_pk_mul_f32 v[22:23], v[38:39], s[14:15]
	v_fmamk_f32 v52, v5, 0xbf737871, v39
	v_mov_b32_e32 v53, v22
	v_pk_add_f32 v[22:23], v[38:39], v[20:21]
	v_pk_add_f32 v[192:193], v[30:31], v[40:41]
	v_pk_add_f32 v[30:31], v[196:197], v[36:37] neg_lo:[0,1] neg_hi:[0,1]
	v_mov_b32_e32 v42, v38
	v_mov_b32_e32 v198, v5
	v_add_f32_e32 v5, v6, v7
	v_pk_fma_f32 v[38:39], v[38:39], v[20:21], v[52:53]
	v_pk_add_f32 v[22:23], v[22:23], v[52:53] neg_lo:[0,1] neg_hi:[0,1]
	v_pk_fma_f32 v[28:29], v[28:29], 0.5, v[116:117] op_sel_hi:[1,0,1] neg_lo:[1,0,0] neg_hi:[1,0,0]
	v_mov_b32_e32 v43, v30
	v_mul_f32_e32 v6, 0x3e9e377a, v5
	v_mov_b32_e32 v39, v23
	v_mov_b32_e32 v199, v197
	v_pk_add_f32 v[52:53], v[6:7], v[38:39] op_sel_hi:[0,1]
	v_pk_fma_f32 v[6:7], v[42:43], s[0:1], v[28:29] op_sel_hi:[1,0,1]
	v_pk_fma_f32 v[214:215], v[42:43], s[0:1], v[28:29] op_sel_hi:[1,0,1] neg_lo:[1,0,0] neg_hi:[1,0,0]
	v_pk_fma_f32 v[216:217], v[198:199], s[14:15], v[6:7] op_sel_hi:[1,0,1]
	v_pk_fma_f32 v[22:23], v[196:197], s[14:15], v[214:215] op_sel_hi:[1,0,1] neg_lo:[1,0,0] neg_hi:[1,0,0]
	v_pk_mul_f32 v[40:41], v[196:197], v[36:37]
	v_mov_b32_e32 v22, v216
	v_mov_b32_e32 v21, v12
	v_pk_mul_f32 v[6:7], v[30:31], s[14:15]
	v_mov_b32_e32 v40, v30
	v_pk_fma_f32 v[218:219], v[192:193], s[16:17], v[22:23] op_sel_hi:[1,0,1]
	v_pk_fma_f32 v[22:23], v[196:197], v[36:37], v[20:21]
	v_sub_f32_e32 v28, v12, v41
	v_mov_b32_e32 v29, v6
	v_pk_fma_f32 v[6:7], v[40:41], v[20:21], v[28:29]
	v_pk_add_f32 v[20:21], v[22:23], v[28:29] neg_lo:[0,1] neg_hi:[0,1]
	v_mul_f32_e32 v4, 0x3e9e377a, v4
	v_mov_b32_e32 v7, v21
	v_pk_add_f32 v[180:181], v[4:5], v[6:7] op_sel_hi:[0,1]
	v_pk_add_f32 v[4:5], v[200:201], v[204:205]
	v_pk_add_f32 v[6:7], v[194:195], v[210:211] neg_lo:[0,1] neg_hi:[0,1]
	v_pk_fma_f32 v[4:5], v[4:5], 0.5, v[120:121] op_sel_hi:[1,0,1] neg_lo:[1,0,0] neg_hi:[1,0,0]
	v_pk_mul_f32 v[20:21], v[6:7], s[0:1] op_sel_hi:[1,0]
	v_pk_add_f32 v[22:23], v[200:201], v[204:205] neg_lo:[0,1] neg_hi:[0,1]
	v_pk_add_f32 v[28:29], v[194:195], v[200:201] neg_lo:[0,1] neg_hi:[0,1]
	;; [unrolled: 1-line block ×3, first 2 shown]
	v_pk_mul_f32 v[6:7], v[6:7], s[14:15] op_sel_hi:[1,0]
	v_pk_add_f32 v[28:29], v[28:29], v[30:31]
	v_pk_add_f32 v[30:31], v[4:5], v[20:21] op_sel:[0,1] op_sel_hi:[1,0]
	v_pk_add_f32 v[4:5], v[4:5], v[20:21] op_sel:[0,1] op_sel_hi:[1,0] neg_lo:[0,1] neg_hi:[0,1]
	v_pk_mul_f32 v[20:21], v[22:23], s[14:15] op_sel_hi:[1,0]
	v_pk_mul_f32 v[22:23], v[22:23], s[0:1] op_sel_hi:[1,0]
	v_pk_add_f32 v[4:5], v[4:5], v[20:21] op_sel:[0,1] op_sel_hi:[1,0] neg_lo:[0,1] neg_hi:[0,1]
	v_pk_add_f32 v[20:21], v[30:31], v[20:21] op_sel:[0,1] op_sel_hi:[1,0]
	v_mov_b32_e32 v31, v5
	v_mov_b32_e32 v30, v20
	;; [unrolled: 1-line block ×3, first 2 shown]
	v_pk_add_f32 v[20:21], v[194:195], v[210:211]
	v_pk_fma_f32 v[220:221], v[28:29], s[16:17], v[30:31] op_sel_hi:[1,0,1]
	v_pk_fma_f32 v[4:5], v[28:29], s[16:17], v[4:5] op_sel_hi:[1,0,1]
	v_pk_fma_f32 v[20:21], v[20:21], 0.5, v[120:121] op_sel_hi:[1,0,1] neg_lo:[1,0,0] neg_hi:[1,0,0]
	v_pk_add_f32 v[28:29], v[200:201], v[194:195] neg_lo:[0,1] neg_hi:[0,1]
	v_pk_add_f32 v[30:31], v[204:205], v[210:211] neg_lo:[0,1] neg_hi:[0,1]
	v_pk_add_f32 v[36:37], v[154:155], v[158:159] neg_lo:[0,1] neg_hi:[0,1]
	v_pk_add_f32 v[28:29], v[28:29], v[30:31]
	v_pk_add_f32 v[30:31], v[20:21], v[22:23] op_sel:[0,1] op_sel_hi:[1,0] neg_lo:[0,1] neg_hi:[0,1]
	v_pk_add_f32 v[20:21], v[20:21], v[22:23] op_sel:[0,1] op_sel_hi:[1,0]
	v_pk_add_f32 v[38:39], v[150:151], v[154:155] neg_lo:[0,1] neg_hi:[0,1]
	v_pk_add_f32 v[20:21], v[20:21], v[6:7] op_sel:[0,1] op_sel_hi:[1,0] neg_lo:[0,1] neg_hi:[0,1]
	v_pk_add_f32 v[6:7], v[30:31], v[6:7] op_sel:[0,1] op_sel_hi:[1,0]
	v_mov_b32_e32 v23, v21
	v_mov_b32_e32 v22, v6
	;; [unrolled: 1-line block ×3, first 2 shown]
	v_pk_fma_f32 v[22:23], v[28:29], s[16:17], v[22:23] op_sel_hi:[1,0,1]
	v_pk_fma_f32 v[6:7], v[28:29], s[16:17], v[20:21] op_sel_hi:[1,0,1]
	v_pk_add_f32 v[20:21], v[154:155], v[158:159]
	v_pk_add_f32 v[28:29], v[150:151], v[164:165] neg_lo:[0,1] neg_hi:[0,1]
	v_pk_fma_f32 v[20:21], v[20:21], 0.5, v[122:123] op_sel_hi:[1,0,1] neg_lo:[1,0,0] neg_hi:[1,0,0]
	v_pk_mul_f32 v[30:31], v[28:29], s[0:1] op_sel_hi:[1,0]
	v_pk_add_f32 v[40:41], v[164:165], v[158:159] neg_lo:[0,1] neg_hi:[0,1]
	v_pk_mul_f32 v[28:29], v[28:29], s[14:15] op_sel_hi:[1,0]
	v_pk_add_f32 v[38:39], v[38:39], v[40:41]
	v_pk_add_f32 v[40:41], v[20:21], v[30:31] op_sel:[0,1] op_sel_hi:[1,0]
	v_pk_add_f32 v[20:21], v[20:21], v[30:31] op_sel:[0,1] op_sel_hi:[1,0] neg_lo:[0,1] neg_hi:[0,1]
	v_pk_mul_f32 v[30:31], v[36:37], s[14:15] op_sel_hi:[1,0]
	v_pk_add_f32 v[42:43], v[156:157], v[162:163] neg_lo:[0,1] neg_hi:[0,1]
	v_pk_add_f32 v[20:21], v[20:21], v[30:31] op_sel:[0,1] op_sel_hi:[1,0] neg_lo:[0,1] neg_hi:[0,1]
	v_pk_add_f32 v[30:31], v[40:41], v[30:31] op_sel:[0,1] op_sel_hi:[1,0]
	v_mov_b32_e32 v41, v21
	v_mov_b32_e32 v21, v31
	v_pk_fma_f32 v[20:21], v[38:39], s[16:17], v[20:21] op_sel_hi:[1,0,1]
	v_mov_b32_e32 v40, v30
	ds_write2_b64 v231, v[4:5], v[20:21] offset0:32 offset1:88
	v_pk_add_f32 v[4:5], v[150:151], v[164:165]
	v_pk_add_f32 v[20:21], v[154:155], v[150:151] neg_lo:[0,1] neg_hi:[0,1]
	v_pk_add_f32 v[30:31], v[158:159], v[164:165] neg_lo:[0,1] neg_hi:[0,1]
	v_pk_fma_f32 v[4:5], v[4:5], 0.5, v[122:123] op_sel_hi:[1,0,1] neg_lo:[1,0,0] neg_hi:[1,0,0]
	v_pk_add_f32 v[20:21], v[20:21], v[30:31]
	v_pk_mul_f32 v[30:31], v[36:37], s[0:1] op_sel_hi:[1,0]
	v_pk_fma_f32 v[40:41], v[38:39], s[16:17], v[40:41] op_sel_hi:[1,0,1]
	v_pk_add_f32 v[36:37], v[4:5], v[30:31] op_sel:[0,1] op_sel_hi:[1,0] neg_lo:[0,1] neg_hi:[0,1]
	v_pk_add_f32 v[4:5], v[4:5], v[30:31] op_sel:[0,1] op_sel_hi:[1,0]
	v_pk_add_f32 v[38:39], v[152:153], v[148:149] neg_lo:[0,1] neg_hi:[0,1]
	v_pk_add_f32 v[4:5], v[4:5], v[28:29] op_sel:[0,1] op_sel_hi:[1,0] neg_lo:[0,1] neg_hi:[0,1]
	v_pk_add_f32 v[28:29], v[36:37], v[28:29] op_sel:[0,1] op_sel_hi:[1,0]
	v_mov_b32_e32 v31, v5
	v_mov_b32_e32 v5, v29
	;; [unrolled: 1-line block ×3, first 2 shown]
	v_pk_fma_f32 v[4:5], v[20:21], s[16:17], v[4:5] op_sel_hi:[1,0,1]
	v_pk_fma_f32 v[30:31], v[20:21], s[16:17], v[30:31] op_sel_hi:[1,0,1]
	ds_write2_b64 v230, v[6:7], v[4:5] offset0:152 offset1:208
	ds_write2_b64 v227, v[22:23], v[30:31] offset0:16 offset1:72
	v_pk_add_f32 v[4:5], v[152:153], v[156:157]
	v_pk_add_f32 v[6:7], v[148:149], v[162:163] neg_lo:[0,1] neg_hi:[0,1]
	v_pk_fma_f32 v[4:5], v[4:5], 0.5, v[124:125] op_sel_hi:[1,0,1] neg_lo:[1,0,0] neg_hi:[1,0,0]
	v_pk_mul_f32 v[20:21], v[6:7], s[0:1] op_sel_hi:[1,0]
	v_pk_add_f32 v[22:23], v[152:153], v[156:157] neg_lo:[0,1] neg_hi:[0,1]
	v_pk_add_f32 v[30:31], v[148:149], v[152:153] neg_lo:[0,1] neg_hi:[0,1]
	;; [unrolled: 1-line block ×3, first 2 shown]
	v_pk_mul_f32 v[28:29], v[22:23], s[14:15] op_sel_hi:[1,0]
	v_pk_add_f32 v[30:31], v[30:31], v[36:37]
	v_pk_add_f32 v[36:37], v[4:5], v[20:21] op_sel:[0,1] op_sel_hi:[1,0]
	v_pk_add_f32 v[4:5], v[4:5], v[20:21] op_sel:[0,1] op_sel_hi:[1,0] neg_lo:[0,1] neg_hi:[0,1]
	v_pk_add_f32 v[20:21], v[36:37], v[28:29] op_sel:[0,1] op_sel_hi:[1,0]
	v_pk_add_f32 v[36:37], v[148:149], v[162:163]
	v_pk_mul_f32 v[22:23], v[22:23], s[0:1] op_sel_hi:[1,0]
	v_pk_fma_f32 v[36:37], v[36:37], 0.5, v[124:125] op_sel_hi:[1,0,1] neg_lo:[1,0,0] neg_hi:[1,0,0]
	v_pk_add_f32 v[4:5], v[4:5], v[28:29] op_sel:[0,1] op_sel_hi:[1,0] neg_lo:[0,1] neg_hi:[0,1]
	v_pk_add_f32 v[38:39], v[38:39], v[42:43]
	v_pk_mul_f32 v[6:7], v[6:7], s[14:15] op_sel_hi:[1,0]
	v_pk_add_f32 v[42:43], v[36:37], v[22:23] op_sel:[0,1] op_sel_hi:[1,0] neg_lo:[0,1] neg_hi:[0,1]
	v_pk_add_f32 v[22:23], v[36:37], v[22:23] op_sel:[0,1] op_sel_hi:[1,0]
	v_mov_b32_e32 v29, v5
	v_pk_add_f32 v[22:23], v[22:23], v[6:7] op_sel:[0,1] op_sel_hi:[1,0] neg_lo:[0,1] neg_hi:[0,1]
	v_pk_add_f32 v[6:7], v[42:43], v[6:7] op_sel:[0,1] op_sel_hi:[1,0]
	v_mov_b32_e32 v5, v21
	v_mov_b32_e32 v37, v23
	;; [unrolled: 1-line block ×3, first 2 shown]
	v_pk_fma_f32 v[4:5], v[30:31], s[16:17], v[4:5] op_sel_hi:[1,0,1]
	v_mov_b32_e32 v28, v20
	v_mov_b32_e32 v36, v6
	v_pk_fma_f32 v[6:7], v[38:39], s[16:17], v[22:23] op_sel_hi:[1,0,1]
	ds_write_b64 v182, v[4:5] offset:13440
	v_pk_add_f32 v[4:5], v[160:161], v[170:171]
	v_pk_add_f32 v[20:21], v[166:167], v[160:161] neg_lo:[0,1] neg_hi:[0,1]
	v_pk_add_f32 v[22:23], v[168:169], v[170:171] neg_lo:[0,1] neg_hi:[0,1]
	v_pk_fma_f32 v[4:5], v[4:5], 0.5, v[126:127] op_sel_hi:[1,0,1] neg_lo:[1,0,0] neg_hi:[1,0,0]
	v_pk_add_f32 v[20:21], v[20:21], v[22:23]
	v_pk_mul_f32 v[22:23], v[212:213], s[0:1] op_sel_hi:[1,0]
	v_pk_fma_f32 v[28:29], v[30:31], s[16:17], v[28:29] op_sel_hi:[1,0,1]
	v_pk_fma_f32 v[36:37], v[38:39], s[16:17], v[36:37] op_sel_hi:[1,0,1]
	v_pk_mul_f32 v[30:31], v[208:209], s[14:15] op_sel_hi:[1,0]
	v_pk_add_f32 v[38:39], v[4:5], v[22:23] op_sel:[0,1] op_sel_hi:[1,0] neg_lo:[0,1] neg_hi:[0,1]
	v_pk_add_f32 v[4:5], v[4:5], v[22:23] op_sel:[0,1] op_sel_hi:[1,0]
	v_pk_add_f32 v[22:23], v[38:39], v[30:31] op_sel:[0,1] op_sel_hi:[1,0]
	v_pk_add_f32 v[4:5], v[4:5], v[30:31] op_sel:[0,1] op_sel_hi:[1,0] neg_lo:[0,1] neg_hi:[0,1]
	v_mov_b32_e32 v30, v22
	v_mov_b32_e32 v31, v5
	;; [unrolled: 1-line block ×3, first 2 shown]
	v_pk_fma_f32 v[4:5], v[20:21], s[16:17], v[4:5] op_sel_hi:[1,0,1]
	v_pk_fma_f32 v[30:31], v[20:21], s[16:17], v[30:31] op_sel_hi:[1,0,1]
	ds_write2_b64 v228, v[6:7], v[4:5] offset0:8 offset1:64
	ds_write2_b64 v227, v[36:37], v[30:31] offset0:128 offset1:184
	;; [unrolled: 1-line block ×3, first 2 shown]
	v_pk_add_f32 v[4:5], v[172:173], v[174:175]
	v_pk_add_f32 v[6:7], v[142:143], v[184:185] neg_lo:[0,1] neg_hi:[0,1]
	v_pk_fma_f32 v[4:5], v[4:5], 0.5, v[128:129] op_sel_hi:[1,0,1] neg_lo:[1,0,0] neg_hi:[1,0,0]
	v_pk_mul_f32 v[20:21], v[6:7], s[0:1] op_sel_hi:[1,0]
	v_pk_add_f32 v[22:23], v[172:173], v[174:175] neg_lo:[0,1] neg_hi:[0,1]
	v_pk_add_f32 v[30:31], v[142:143], v[172:173] neg_lo:[0,1] neg_hi:[0,1]
	v_pk_add_f32 v[36:37], v[184:185], v[174:175] neg_lo:[0,1] neg_hi:[0,1]
	v_pk_mul_f32 v[28:29], v[22:23], s[14:15] op_sel_hi:[1,0]
	v_pk_add_f32 v[30:31], v[30:31], v[36:37]
	v_pk_add_f32 v[36:37], v[4:5], v[20:21] op_sel:[0,1] op_sel_hi:[1,0]
	v_pk_add_f32 v[4:5], v[4:5], v[20:21] op_sel:[0,1] op_sel_hi:[1,0] neg_lo:[0,1] neg_hi:[0,1]
	v_pk_add_f32 v[20:21], v[36:37], v[28:29] op_sel:[0,1] op_sel_hi:[1,0]
	v_pk_add_f32 v[36:37], v[142:143], v[184:185]
	v_pk_add_f32 v[38:39], v[172:173], v[142:143] neg_lo:[0,1] neg_hi:[0,1]
	v_pk_fma_f32 v[36:37], v[36:37], 0.5, v[128:129] op_sel_hi:[1,0,1] neg_lo:[1,0,0] neg_hi:[1,0,0]
	v_pk_add_f32 v[40:41], v[174:175], v[184:185] neg_lo:[0,1] neg_hi:[0,1]
	v_pk_mul_f32 v[22:23], v[22:23], s[0:1] op_sel_hi:[1,0]
	v_pk_add_f32 v[38:39], v[38:39], v[40:41]
	v_pk_mul_f32 v[6:7], v[6:7], s[14:15] op_sel_hi:[1,0]
	v_pk_add_f32 v[40:41], v[36:37], v[22:23] op_sel:[0,1] op_sel_hi:[1,0] neg_lo:[0,1] neg_hi:[0,1]
	v_pk_add_f32 v[22:23], v[36:37], v[22:23] op_sel:[0,1] op_sel_hi:[1,0]
	v_pk_add_f32 v[4:5], v[4:5], v[28:29] op_sel:[0,1] op_sel_hi:[1,0] neg_lo:[0,1] neg_hi:[0,1]
	v_pk_add_f32 v[22:23], v[22:23], v[6:7] op_sel:[0,1] op_sel_hi:[1,0] neg_lo:[0,1] neg_hi:[0,1]
	v_pk_add_f32 v[6:7], v[40:41], v[6:7] op_sel:[0,1] op_sel_hi:[1,0]
	v_mov_b32_e32 v29, v5
	v_mov_b32_e32 v37, v23
	;; [unrolled: 1-line block ×5, first 2 shown]
	v_pk_fma_f32 v[6:7], v[38:39], s[16:17], v[22:23] op_sel_hi:[1,0,1]
	v_pk_fma_f32 v[4:5], v[30:31], s[16:17], v[4:5] op_sel_hi:[1,0,1]
	ds_write_b64 v182, v[6:7] offset:11200
	ds_write_b64 v182, v[4:5] offset:14336
	ds_write2_b64 v234, v[178:179], v[190:191] offset0:96 offset1:152
	v_pk_add_f32 v[4:5], v[140:141], v[176:177]
	v_pk_add_f32 v[6:7], v[138:139], v[136:137] neg_lo:[0,1] neg_hi:[0,1]
	v_mov_b32_e32 v28, v20
	v_pk_fma_f32 v[36:37], v[38:39], s[16:17], v[36:37] op_sel_hi:[1,0,1]
	v_pk_fma_f32 v[4:5], v[4:5], 0.5, v[130:131] op_sel_hi:[1,0,1] neg_lo:[1,0,0] neg_hi:[1,0,0]
	v_pk_mul_f32 v[20:21], v[6:7], s[0:1] op_sel_hi:[1,0]
	v_pk_add_f32 v[22:23], v[140:141], v[176:177] neg_lo:[0,1] neg_hi:[0,1]
	v_pk_add_f32 v[38:39], v[138:139], v[140:141] neg_lo:[0,1] neg_hi:[0,1]
	;; [unrolled: 1-line block ×3, first 2 shown]
	v_pk_fma_f32 v[28:29], v[30:31], s[16:17], v[28:29] op_sel_hi:[1,0,1]
	v_pk_mul_f32 v[30:31], v[22:23], s[14:15] op_sel_hi:[1,0]
	v_pk_add_f32 v[38:39], v[38:39], v[40:41]
	v_pk_add_f32 v[40:41], v[4:5], v[20:21] op_sel:[0,1] op_sel_hi:[1,0]
	v_pk_add_f32 v[4:5], v[4:5], v[20:21] op_sel:[0,1] op_sel_hi:[1,0] neg_lo:[0,1] neg_hi:[0,1]
	v_pk_add_f32 v[20:21], v[40:41], v[30:31] op_sel:[0,1] op_sel_hi:[1,0]
	v_pk_add_f32 v[40:41], v[138:139], v[136:137]
	v_pk_add_f32 v[42:43], v[140:141], v[138:139] neg_lo:[0,1] neg_hi:[0,1]
	v_pk_fma_f32 v[40:41], v[40:41], 0.5, v[130:131] op_sel_hi:[1,0,1] neg_lo:[1,0,0] neg_hi:[1,0,0]
	v_pk_add_f32 v[120:121], v[176:177], v[136:137] neg_lo:[0,1] neg_hi:[0,1]
	v_pk_mul_f32 v[22:23], v[22:23], s[0:1] op_sel_hi:[1,0]
	v_pk_add_f32 v[42:43], v[42:43], v[120:121]
	v_pk_mul_f32 v[6:7], v[6:7], s[14:15] op_sel_hi:[1,0]
	v_pk_add_f32 v[120:121], v[40:41], v[22:23] op_sel:[0,1] op_sel_hi:[1,0] neg_lo:[0,1] neg_hi:[0,1]
	v_pk_add_f32 v[22:23], v[40:41], v[22:23] op_sel:[0,1] op_sel_hi:[1,0]
	v_pk_add_f32 v[4:5], v[4:5], v[30:31] op_sel:[0,1] op_sel_hi:[1,0] neg_lo:[0,1] neg_hi:[0,1]
	v_pk_add_f32 v[22:23], v[22:23], v[6:7] op_sel:[0,1] op_sel_hi:[1,0] neg_lo:[0,1] neg_hi:[0,1]
	v_pk_add_f32 v[6:7], v[120:121], v[6:7] op_sel:[0,1] op_sel_hi:[1,0]
	v_mov_b32_e32 v31, v5
	v_mov_b32_e32 v40, v6
	;; [unrolled: 1-line block ×6, first 2 shown]
	v_pk_fma_f32 v[40:41], v[42:43], s[16:17], v[40:41] op_sel_hi:[1,0,1]
	v_pk_fma_f32 v[6:7], v[42:43], s[16:17], v[22:23] op_sel_hi:[1,0,1]
	;; [unrolled: 1-line block ×3, first 2 shown]
	v_mov_b32_e32 v197, v135
	v_pk_fma_f32 v[30:31], v[38:39], s[16:17], v[30:31] op_sel_hi:[1,0,1]
	ds_write2_b64 v233, v[36:37], v[40:41] offset0:112 offset1:168
	ds_write_b64 v182, v[6:7] offset:11648
	ds_write_b64 v182, v[4:5] offset:14784
	ds_write2_b64 v232, v[28:29], v[30:31] offset0:104 offset1:160
	v_pk_add_f32 v[4:5], v[116:117], v[196:197]
	v_mov_b32_e32 v119, v146
	v_pk_add_f32 v[4:5], v[4:5], v[188:189]
	s_mov_b64 s[0:1], 0x3d40
	v_pk_add_f32 v[4:5], v[4:5], v[132:133]
	v_lshl_add_u64 v[116:117], v[144:145], 0, s[0:1]
	v_pk_add_f32 v[4:5], v[4:5], v[118:119]
	ds_write2_b64 v229, v[4:5], v[220:221] offset0:80 offset1:136
	ds_write_b64 v182, v[218:219] offset:5824
	v_mov_b32_e32 v4, v52
	v_mov_b32_e32 v5, v181
	ds_write_b64 v182, v[4:5] offset:8960
	v_mov_b32_e32 v4, v53
	v_mov_b32_e32 v5, v180
	ds_write_b64 v182, v[4:5] offset:12096
	v_pk_fma_f32 v[4:5], v[198:199], s[14:15], v[214:215] op_sel_hi:[1,0,1] neg_lo:[1,0,0] neg_hi:[1,0,0]
	s_movk_i32 s0, 0x5000
	v_mov_b32_e32 v5, v217
	v_pk_fma_f32 v[184:185], v[192:193], s[16:17], v[4:5] op_sel_hi:[1,0,1]
	v_add_co_u32_e32 v4, vcc, s15, v144
	ds_write_b64 v182, v[184:185] offset:15232
	s_nop 0
	v_addc_co_u32_e32 v5, vcc, 0, v145, vcc
	s_waitcnt lgkmcnt(0)
	; wave barrier
	s_waitcnt lgkmcnt(0)
	global_load_dwordx2 v[36:37], v[4:5], off offset:3392
	global_load_dwordx2 v[118:119], v[116:117], off offset:3920
	v_add_co_u32_e32 v124, vcc, s0, v144
	s_movk_i32 s0, 0x6000
	s_nop 0
	v_addc_co_u32_e32 v125, vcc, 0, v145, vcc
	global_load_dwordx2 v[126:127], v[124:125], off offset:3040
	v_add_co_u32_e32 v120, vcc, s0, v144
	s_movk_i32 s0, 0x4000
	s_nop 0
	v_addc_co_u32_e32 v121, vcc, 0, v145, vcc
	global_load_dwordx2 v[122:123], v[120:121], off offset:2864
	global_load_dwordx2 v[128:129], v[116:117], off offset:448
	v_add_co_u32_e32 v4, vcc, s0, v144
	s_movk_i32 s0, 0x7000
	s_nop 0
	v_addc_co_u32_e32 v5, vcc, 0, v145, vcc
	global_load_dwordx2 v[130:131], v[4:5], off offset:3664
	global_load_dwordx2 v[28:29], v[124:125], off offset:3488
	;; [unrolled: 1-line block ×6, first 2 shown]
	v_add_co_u32_e32 v22, vcc, s0, v144
	s_nop 1
	v_addc_co_u32_e32 v23, vcc, 0, v145, vcc
	global_load_dwordx2 v[136:137], v[22:23], off offset:112
	global_load_dwordx2 v[38:39], v[120:121], off offset:3760
	ds_read2_b64 v[4:7], v182 offset1:56
	global_load_dwordx2 v[40:41], v[116:117], off offset:1344
	global_load_dwordx2 v[42:43], v[124:125], off offset:464
	;; [unrolled: 1-line block ×3, first 2 shown]
	s_waitcnt vmcnt(15) lgkmcnt(0)
	v_mul_f32_e32 v12, v5, v37
	v_mul_f32_e32 v139, v4, v37
	v_fma_f32 v138, v4, v36, -v12
	v_fmac_f32_e32 v139, v5, v36
	global_load_dwordx2 v[36:37], v[120:121], off offset:288
	ds_write_b64 v182, v[138:139]
	v_add_u32_e32 v4, 0xc00, v182
	ds_read2_b64 v[138:141], v4 offset0:106 offset1:162
	global_load_dwordx2 v[148:149], v[116:117], off offset:2240
	global_load_dwordx2 v[150:151], v[116:117], off offset:2688
	;; [unrolled: 1-line block ×4, first 2 shown]
	ds_read2_b64 v[142:145], v233 offset0:84 offset1:140
	s_waitcnt vmcnt(19) lgkmcnt(1)
	v_mul_f32_e32 v5, v139, v119
	v_fma_f32 v154, v138, v118, -v5
	v_mul_f32_e32 v155, v138, v119
	s_waitcnt vmcnt(18) lgkmcnt(0)
	v_mul_f32_e32 v5, v143, v127
	v_mul_f32_e32 v163, v142, v127
	v_fmac_f32_e32 v155, v139, v118
	global_load_dwordx2 v[138:139], v[124:125], off offset:1360
	global_load_dwordx2 v[158:159], v[124:125], off offset:1808
	;; [unrolled: 1-line block ×3, first 2 shown]
	v_fma_f32 v162, v142, v126, -v5
	v_fmac_f32_e32 v163, v143, v126
	ds_read2_b64 v[124:127], v228 offset0:190 offset1:246
	global_load_dwordx2 v[142:143], v[120:121], off offset:736
	global_load_dwordx2 v[164:165], v[120:121], off offset:1184
	;; [unrolled: 1-line block ×5, first 2 shown]
	ds_read2_b64 v[118:121], v182 offset0:112 offset1:168
	s_waitcnt vmcnt(25) lgkmcnt(1)
	v_mul_f32_e32 v5, v125, v123
	v_fma_f32 v170, v124, v122, -v5
	v_mul_f32_e32 v171, v124, v123
	s_waitcnt vmcnt(24)
	v_mul_f32_e32 v5, v7, v129
	v_fmac_f32_e32 v171, v125, v122
	v_fma_f32 v122, v6, v128, -v5
	v_mul_f32_e32 v123, v6, v129
	s_waitcnt vmcnt(23)
	v_mul_f32_e32 v5, v141, v131
	v_fmac_f32_e32 v123, v7, v128
	;; [unrolled: 5-line block ×3, first 2 shown]
	v_fma_f32 v130, v144, v28, -v5
	v_mul_f32_e32 v131, v144, v29
	s_waitcnt vmcnt(21)
	v_mul_f32_e32 v5, v127, v31
	v_mul_f32_e32 v141, v126, v31
	v_fmac_f32_e32 v131, v145, v28
	global_load_dwordx2 v[144:145], v[22:23], off offset:1008
	v_fma_f32 v140, v126, v30, -v5
	v_fmac_f32_e32 v141, v127, v30
	s_waitcnt vmcnt(21) lgkmcnt(0)
	v_mul_f32_e32 v5, v119, v133
	ds_read2_b64 v[28:31], v232 offset0:90 offset1:146
	v_mul_f32_e32 v125, v118, v133
	v_fma_f32 v124, v118, v132, -v5
	v_fmac_f32_e32 v125, v119, v132
	ds_write2_b64 v182, v[122:123], v[124:125] offset0:56 offset1:112
	ds_read2_b64 v[122:125], v230 offset0:68 offset1:124
	ds_read2_b64 v[126:129], v231 offset0:46 offset1:102
	s_waitcnt vmcnt(20) lgkmcnt(3)
	v_mul_f32_e32 v5, v29, v135
	v_mul_f32_e32 v119, v28, v135
	v_fma_f32 v118, v28, v134, -v5
	v_fmac_f32_e32 v119, v29, v134
	ds_write2_b64 v232, v[6:7], v[118:119] offset0:34 offset1:90
	s_waitcnt vmcnt(19) lgkmcnt(2)
	v_mul_f32_e32 v5, v123, v21
	v_mul_f32_e32 v7, v122, v21
	v_fma_f32 v6, v122, v20, -v5
	v_fmac_f32_e32 v7, v123, v20
	ds_write2_b64 v230, v[130:131], v[6:7] offset0:12 offset1:68
	s_waitcnt vmcnt(17) lgkmcnt(2)
	v_mul_f32_e32 v5, v127, v39
	v_mul_f32_e32 v7, v126, v39
	v_fma_f32 v6, v126, v38, -v5
	v_fmac_f32_e32 v7, v127, v38
	global_load_dwordx2 v[38:39], v[22:23], off offset:1456
	global_load_dwordx2 v[126:127], v[22:23], off offset:1904
	v_add_u32_e32 v5, 0x2c00, v182
	ds_write2_b64 v5, v[140:141], v[6:7] offset0:118 offset1:174
	s_waitcnt vmcnt(18)
	v_mul_f32_e32 v5, v121, v41
	v_fma_f32 v6, v120, v40, -v5
	v_mul_f32_e32 v7, v120, v41
	s_waitcnt vmcnt(17)
	v_mul_f32_e32 v5, v31, v43
	v_mul_f32_e32 v41, v30, v43
	v_fmac_f32_e32 v7, v121, v40
	v_fma_f32 v40, v30, v42, -v5
	v_fmac_f32_e32 v41, v31, v42
	ds_read2_b64 v[28:31], v234 offset0:96 offset1:152
	s_waitcnt vmcnt(15)
	v_mul_f32_e32 v5, v125, v37
	v_fma_f32 v42, v124, v36, -v5
	v_mul_f32_e32 v43, v124, v37
	v_mul_f32_e32 v5, v129, v137
	v_fmac_f32_e32 v43, v125, v36
	v_fma_f32 v36, v128, v136, -v5
	v_add_u32_e32 v5, 0x1400, v182
	s_waitcnt vmcnt(11) lgkmcnt(0)
	v_mul_f32_e32 v12, v29, v157
	ds_read2_b64 v[20:23], v5 offset0:74 offset1:130
	v_mul_f32_e32 v119, v28, v157
	v_fma_f32 v118, v28, v156, -v12
	v_fmac_f32_e32 v119, v29, v156
	ds_write2_b64 v182, v[6:7], v[118:119] offset0:168 offset1:224
	ds_read2_b64 v[118:121], v230 offset0:180 offset1:236
	ds_read2_b64 v[122:125], v231 offset0:158 offset1:214
	s_waitcnt lgkmcnt(3)
	v_mul_f32_e32 v6, v21, v147
	v_mul_f32_e32 v7, v20, v147
	v_fma_f32 v6, v20, v146, -v6
	v_fmac_f32_e32 v7, v21, v146
	ds_write2_b64 v232, v[40:41], v[6:7] offset0:146 offset1:202
	s_waitcnt vmcnt(7) lgkmcnt(2)
	v_mul_f32_e32 v6, v119, v143
	v_mul_f32_e32 v7, v118, v143
	v_fma_f32 v6, v118, v142, -v6
	v_fmac_f32_e32 v7, v119, v142
	v_mul_f32_e32 v37, v128, v137
	ds_write2_b64 v230, v[42:43], v[6:7] offset0:124 offset1:180
	s_waitcnt vmcnt(3) lgkmcnt(2)
	v_mul_f32_e32 v6, v123, v173
	v_mul_f32_e32 v7, v122, v173
	v_fmac_f32_e32 v37, v129, v136
	v_fma_f32 v6, v122, v172, -v6
	v_fmac_f32_e32 v7, v123, v172
	ds_write2_b64 v231, v[36:37], v[6:7] offset0:102 offset1:158
	v_mul_f32_e32 v12, v23, v139
	v_mul_f32_e32 v37, v22, v139
	v_fma_f32 v36, v22, v138, -v12
	v_fmac_f32_e32 v37, v23, v138
	ds_read2_b64 v[20:23], v229 offset0:80 offset1:136
	v_mul_f32_e32 v12, v121, v165
	v_mul_f32_e32 v6, v31, v149
	;; [unrolled: 1-line block ×3, first 2 shown]
	v_fma_f32 v40, v120, v164, -v12
	s_waitcnt vmcnt(2)
	v_mul_f32_e32 v12, v125, v145
	v_fma_f32 v6, v30, v148, -v6
	v_fmac_f32_e32 v7, v31, v148
	v_fma_f32 v42, v124, v144, -v12
	s_waitcnt lgkmcnt(0)
	v_mul_f32_e32 v12, v21, v151
	ds_read2_b64 v[28:31], v227 offset0:58 offset1:114
	v_mul_f32_e32 v119, v20, v151
	v_mul_f32_e32 v41, v120, v165
	v_fma_f32 v118, v20, v150, -v12
	v_fmac_f32_e32 v119, v21, v150
	v_fmac_f32_e32 v41, v121, v164
	ds_write2_b64 v229, v[6:7], v[118:119] offset0:24 offset1:80
	ds_read2_b64 v[118:121], v228 offset0:36 offset1:92
	v_mul_f32_e32 v43, v124, v145
	v_fmac_f32_e32 v43, v125, v144
	ds_read2_b64 v[122:125], v242 offset0:14 offset1:70
	s_waitcnt lgkmcnt(3)
	v_mul_f32_e32 v6, v29, v159
	v_mul_f32_e32 v7, v28, v159
	v_fma_f32 v6, v28, v158, -v6
	v_fmac_f32_e32 v7, v29, v158
	ds_write2_b64 v227, v[36:37], v[6:7] offset0:2 offset1:58
	s_waitcnt lgkmcnt(2)
	v_mul_f32_e32 v6, v119, v167
	v_mul_f32_e32 v7, v118, v167
	v_fma_f32 v6, v118, v166, -v6
	v_fmac_f32_e32 v7, v119, v166
	ds_write2_b64 v235, v[40:41], v[6:7] offset0:108 offset1:164
	s_waitcnt vmcnt(1) lgkmcnt(2)
	v_mul_f32_e32 v6, v123, v39
	v_mul_f32_e32 v7, v122, v39
	v_fma_f32 v6, v122, v38, -v6
	v_fmac_f32_e32 v7, v123, v38
	v_add_u32_e32 v12, 0x3400, v182
	ds_write2_b64 v12, v[42:43], v[6:7] offset0:86 offset1:142
	v_mul_f32_e32 v6, v23, v153
	v_mul_f32_e32 v7, v22, v153
	v_fma_f32 v6, v22, v152, -v6
	v_fmac_f32_e32 v7, v23, v152
	ds_write2_b64 v229, v[6:7], v[154:155] offset0:136 offset1:234
	v_mul_f32_e32 v6, v31, v161
	v_mul_f32_e32 v7, v30, v161
	v_fma_f32 v6, v30, v160, -v6
	v_fmac_f32_e32 v7, v31, v160
	;; [unrolled: 5-line block ×3, first 2 shown]
	ds_write2_b64 v228, v[6:7], v[170:171] offset0:92 offset1:190
	s_waitcnt vmcnt(0)
	v_mul_f32_e32 v6, v125, v127
	v_mul_f32_e32 v7, v124, v127
	v_fma_f32 v6, v124, v126, -v6
	v_fmac_f32_e32 v7, v125, v126
	ds_write_b64 v182, v[6:7] offset:14896
	s_and_saveexec_b64 s[0:1], s[6:7]
	s_cbranch_execz .LBB0_13
; %bb.12:
	global_load_dwordx2 v[20:21], v[116:117], off offset:3584
	ds_read_b64 v[6:7], v182 offset:3584
	s_waitcnt vmcnt(0) lgkmcnt(0)
	v_mul_f32_e32 v12, v7, v21
	v_mul_f32_e32 v23, v6, v21
	v_fma_f32 v22, v6, v20, -v12
	v_fmac_f32_e32 v23, v7, v20
	v_add_co_u32_e32 v20, vcc, 0x1000, v116
	ds_read_b64 v[6:7], v182 offset:7504
	s_nop 0
	v_addc_co_u32_e32 v21, vcc, 0, v117, vcc
	global_load_dwordx2 v[20:21], v[20:21], off offset:3408
	ds_write_b64 v182, v[22:23] offset:3584
	s_waitcnt vmcnt(0) lgkmcnt(1)
	v_mul_f32_e32 v12, v7, v21
	v_mul_f32_e32 v23, v6, v21
	v_fma_f32 v22, v6, v20, -v12
	v_fmac_f32_e32 v23, v7, v20
	v_add_co_u32_e32 v20, vcc, 0x2000, v116
	ds_read_b64 v[6:7], v182 offset:11424
	s_nop 0
	v_addc_co_u32_e32 v21, vcc, 0, v117, vcc
	global_load_dwordx2 v[20:21], v[20:21], off offset:3232
	ds_write_b64 v182, v[22:23] offset:7504
	;; [unrolled: 11-line block ×3, first 2 shown]
	s_waitcnt vmcnt(0) lgkmcnt(1)
	v_mul_f32_e32 v12, v7, v21
	v_mul_f32_e32 v23, v6, v21
	v_fma_f32 v22, v6, v20, -v12
	v_fmac_f32_e32 v23, v7, v20
	ds_write_b64 v182, v[22:23] offset:15344
.LBB0_13:
	s_or_b64 exec, exec, s[0:1]
	s_waitcnt lgkmcnt(0)
	; wave barrier
	s_waitcnt lgkmcnt(0)
	ds_read2_b64 v[144:147], v182 offset1:56
	ds_read2_b64 v[148:151], v4 offset0:106 offset1:162
	ds_read2_b64 v[116:119], v233 offset0:84 offset1:140
	;; [unrolled: 1-line block ×15, first 2 shown]
                                        ; implicit-def: $vgpr22_vgpr23
	s_and_saveexec_b64 s[0:1], s[2:3]
	s_xor_b64 s[0:1], exec, s[0:1]
; %bb.14:
	v_accvgpr_read_b32 v22, a127
	v_mov_b32_e32 v23, v185
	v_accvgpr_read_b32 v185, a126
; %bb.15:
	s_andn2_saveexec_b64 s[0:1], s[0:1]
	s_cbranch_execz .LBB0_17
; %bb.16:
	ds_read_b64 v[184:185], v182 offset:11424
	ds_read_b64 v[4:5], v182 offset:7504
	;; [unrolled: 1-line block ×4, first 2 shown]
	s_waitcnt lgkmcnt(3)
	v_mov_b32_e32 v23, v185
	s_waitcnt lgkmcnt(2)
	v_mov_b32_e32 v180, v5
	;; [unrolled: 2-line block ×4, first 2 shown]
	v_mov_b32_e32 v53, v4
	v_mov_b32_e32 v185, v6
.LBB0_17:
	s_or_b64 exec, exec, s[0:1]
	v_pk_add_f32 v[20:21], v[52:53], v[184:185] neg_lo:[0,1] neg_hi:[0,1]
	v_pk_add_f32 v[22:23], v[180:181], v[22:23] neg_lo:[0,1] neg_hi:[0,1]
	s_waitcnt lgkmcnt(13)
	v_pk_add_f32 v[30:31], v[144:145], v[116:117] neg_lo:[0,1] neg_hi:[0,1]
	s_waitcnt lgkmcnt(12)
	v_pk_add_f32 v[36:37], v[148:149], v[164:165] neg_lo:[0,1] neg_hi:[0,1]
	v_pk_add_f32 v[38:39], v[146:147], v[118:119] neg_lo:[0,1] neg_hi:[0,1]
	v_pk_add_f32 v[118:119], v[22:23], v[20:21]
	v_pk_add_f32 v[4:5], v[22:23], v[20:21] neg_lo:[0,1] neg_hi:[0,1]
	v_pk_fma_f32 v[6:7], v[144:145], 2.0, v[30:31] op_sel_hi:[1,0,1] neg_lo:[0,0,1] neg_hi:[0,0,1]
	v_mov_b32_e32 v119, v5
	v_pk_fma_f32 v[4:5], v[148:149], 2.0, v[36:37] op_sel_hi:[1,0,1] neg_lo:[0,0,1] neg_hi:[0,0,1]
	v_pk_add_f32 v[40:41], v[150:151], v[166:167] neg_lo:[0,1] neg_hi:[0,1]
	v_pk_add_f32 v[4:5], v[6:7], v[4:5] neg_lo:[0,1] neg_hi:[0,1]
	s_waitcnt lgkmcnt(0)
	v_pk_fma_f32 v[28:29], v[6:7], 2.0, v[4:5] op_sel_hi:[1,0,1] neg_lo:[0,0,1] neg_hi:[0,0,1]
	v_pk_add_f32 v[6:7], v[30:31], v[36:37] op_sel:[0,1] op_sel_hi:[1,0]
	v_pk_add_f32 v[36:37], v[30:31], v[36:37] op_sel:[0,1] op_sel_hi:[1,0] neg_lo:[0,1] neg_hi:[0,1]
	; wave barrier
	s_nop 0
	v_mov_b32_e32 v7, v37
	v_pk_fma_f32 v[30:31], v[30:31], 2.0, v[6:7] op_sel_hi:[1,0,1] neg_lo:[0,0,1] neg_hi:[0,0,1]
	ds_write_b128 v187, v[28:31]
	ds_write_b128 v187, v[4:7] offset:16
	v_pk_fma_f32 v[6:7], v[146:147], 2.0, v[38:39] op_sel_hi:[1,0,1] neg_lo:[0,0,1] neg_hi:[0,0,1]
	v_pk_fma_f32 v[4:5], v[150:151], 2.0, v[40:41] op_sel_hi:[1,0,1] neg_lo:[0,0,1] neg_hi:[0,0,1]
	v_pk_add_f32 v[36:37], v[38:39], v[40:41] op_sel:[0,1] op_sel_hi:[1,0] neg_lo:[0,1] neg_hi:[0,1]
	v_pk_add_f32 v[4:5], v[6:7], v[4:5] neg_lo:[0,1] neg_hi:[0,1]
	v_pk_add_f32 v[42:43], v[136:137], v[152:153] neg_lo:[0,1] neg_hi:[0,1]
	v_pk_fma_f32 v[28:29], v[6:7], 2.0, v[4:5] op_sel_hi:[1,0,1] neg_lo:[0,0,1] neg_hi:[0,0,1]
	v_pk_add_f32 v[6:7], v[38:39], v[40:41] op_sel:[0,1] op_sel_hi:[1,0]
	v_pk_add_f32 v[116:117], v[140:141], v[168:169] neg_lo:[0,1] neg_hi:[0,1]
	v_mov_b32_e32 v7, v37
	v_pk_fma_f32 v[30:31], v[38:39], 2.0, v[6:7] op_sel_hi:[1,0,1] neg_lo:[0,0,1] neg_hi:[0,0,1]
	ds_write_b128 v202, v[28:31]
	ds_write_b128 v202, v[4:7] offset:16
	v_pk_fma_f32 v[6:7], v[136:137], 2.0, v[42:43] op_sel_hi:[1,0,1] neg_lo:[0,0,1] neg_hi:[0,0,1]
	v_pk_fma_f32 v[4:5], v[140:141], 2.0, v[116:117] op_sel_hi:[1,0,1] neg_lo:[0,0,1] neg_hi:[0,0,1]
	v_pk_add_f32 v[36:37], v[42:43], v[116:117] op_sel:[0,1] op_sel_hi:[1,0] neg_lo:[0,1] neg_hi:[0,1]
	v_pk_add_f32 v[4:5], v[6:7], v[4:5] neg_lo:[0,1] neg_hi:[0,1]
	v_pk_add_f32 v[152:153], v[138:139], v[154:155] neg_lo:[0,1] neg_hi:[0,1]
	v_pk_fma_f32 v[28:29], v[6:7], 2.0, v[4:5] op_sel_hi:[1,0,1] neg_lo:[0,0,1] neg_hi:[0,0,1]
	v_pk_add_f32 v[6:7], v[42:43], v[116:117] op_sel:[0,1] op_sel_hi:[1,0]
	v_pk_add_f32 v[154:155], v[142:143], v[170:171] neg_lo:[0,1] neg_hi:[0,1]
	;; [unrolled: 12-line block ×6, first 2 shown]
	v_mov_b32_e32 v7, v37
	v_pk_fma_f32 v[30:31], v[160:161], 2.0, v[6:7] op_sel_hi:[1,0,1] neg_lo:[0,0,1] neg_hi:[0,0,1]
	ds_write_b128 v225, v[28:31]
	ds_write_b128 v225, v[4:7] offset:16
	v_pk_fma_f32 v[6:7], v[122:123], 2.0, v[162:163] op_sel_hi:[1,0,1] neg_lo:[0,0,1] neg_hi:[0,0,1]
	v_pk_fma_f32 v[4:5], v[126:127], 2.0, v[170:171] op_sel_hi:[1,0,1] neg_lo:[0,0,1] neg_hi:[0,0,1]
	v_pk_add_f32 v[36:37], v[162:163], v[170:171] op_sel:[0,1] op_sel_hi:[1,0] neg_lo:[0,1] neg_hi:[0,1]
	v_pk_add_f32 v[4:5], v[6:7], v[4:5] neg_lo:[0,1] neg_hi:[0,1]
	s_nop 0
	v_pk_fma_f32 v[28:29], v[6:7], 2.0, v[4:5] op_sel_hi:[1,0,1] neg_lo:[0,0,1] neg_hi:[0,0,1]
	v_pk_add_f32 v[6:7], v[162:163], v[170:171] op_sel:[0,1] op_sel_hi:[1,0]
	s_nop 0
	v_mov_b32_e32 v7, v37
	v_pk_fma_f32 v[30:31], v[162:163], 2.0, v[6:7] op_sel_hi:[1,0,1] neg_lo:[0,0,1] neg_hi:[0,0,1]
	ds_write_b128 v226, v[28:31]
	ds_write_b128 v226, v[4:7] offset:16
	s_and_saveexec_b64 s[0:1], s[6:7]
	s_cbranch_execz .LBB0_19
; %bb.18:
	v_mov_b32_e32 v4, v52
	v_mov_b32_e32 v5, v181
	v_mov_b32_e32 v6, v20
	v_mov_b32_e32 v7, v23
	v_mov_b32_e32 v28, v53
	v_mov_b32_e32 v29, v180
	v_mov_b32_e32 v20, v21
	v_mov_b32_e32 v21, v22
	v_pk_fma_f32 v[4:5], v[4:5], 2.0, v[6:7] op_sel_hi:[1,0,1] neg_lo:[0,0,1] neg_hi:[0,0,1]
	v_pk_fma_f32 v[20:21], v[28:29], 2.0, v[20:21] op_sel_hi:[1,0,1] neg_lo:[0,0,1] neg_hi:[0,0,1]
	;; [unrolled: 1-line block ×3, first 2 shown]
	v_pk_add_f32 v[116:117], v[4:5], v[20:21] neg_lo:[0,1] neg_hi:[0,1]
	s_nop 0
	v_pk_fma_f32 v[4:5], v[4:5], 2.0, v[116:117] op_sel_hi:[1,0,1] neg_lo:[0,0,1] neg_hi:[0,0,1]
	ds_write_b128 v186, v[4:7]
	ds_write_b128 v186, v[116:119] offset:16
.LBB0_19:
	s_or_b64 exec, exec, s[0:1]
	v_accvgpr_read_b32 v4, a144
	v_accvgpr_read_b32 v5, a145
	v_mov_b32_e32 v184, v4
	v_mov_b32_e32 v185, v4
	v_mov_b32_e32 v4, v5
	v_accvgpr_write_b32 a147, v5
	v_accvgpr_write_b32 a146, v4
	v_accvgpr_read_b32 v4, a142
	v_accvgpr_read_b32 v5, a143
	v_mov_b32_e32 v218, v4
	v_mov_b32_e32 v219, v4
	v_mov_b32_e32 v4, v5
	v_accvgpr_write_b32 a145, v5
	v_accvgpr_write_b32 a144, v4
	;; [unrolled: 7-line block ×8, first 2 shown]
	v_accvgpr_read_b32 v4, a160
	v_accvgpr_read_b32 v5, a161
	v_mov_b32_e32 v52, v4
	v_mov_b32_e32 v53, v4
	;; [unrolled: 1-line block ×3, first 2 shown]
	v_accvgpr_write_b32 a161, v5
	v_add_u32_e32 v42, 0x2000, v182
	v_accvgpr_write_b32 a160, v4
	s_waitcnt lgkmcnt(0)
	; wave barrier
	s_waitcnt lgkmcnt(0)
	v_add_u32_e32 v4, 0x400, v182
	ds_read2_b64 v[148:151], v42 offset0:96 offset1:152
	ds_read2_b64 v[132:135], v4 offset0:96 offset1:152
	v_accvgpr_write_b32 a183, v4
	v_add_u32_e32 v31, 0x1000, v182
	v_add_u32_e32 v43, 0x3000, v182
	;; [unrolled: 1-line block ×5, first 2 shown]
	ds_read2_b64 v[124:127], v31 offset0:48 offset1:104
	ds_read2_b64 v[120:123], v43 offset0:144 offset1:200
	;; [unrolled: 1-line block ×6, first 2 shown]
	v_accvgpr_write_b32 a185, v4
	v_add_u32_e32 v4, 0x3800, v182
	v_add_u32_e32 v5, 0x1c00, v182
	ds_read2_b64 v[140:143], v4 offset1:56
	ds_read2_b64 v[176:179], v21 offset0:192 offset1:248
	ds_read2_b64 v[188:191], v5 offset0:112 offset1:168
	;; [unrolled: 1-line block ×3, first 2 shown]
	s_waitcnt lgkmcnt(11)
	v_mul_f32_e32 v6, v51, v148
	v_fma_f32 v160, v50, v149, -v6
	s_waitcnt lgkmcnt(6)
	v_mul_f32_e32 v6, v49, v152
	v_fma_f32 v196, v48, v153, -v6
	v_mul_f32_e32 v6, v51, v150
	s_waitcnt lgkmcnt(0)
	v_pk_mul_f32 v[22:23], v[48:49], v[158:159] op_sel:[0,1] op_sel_hi:[1,0]
	v_fma_f32 v198, v50, v151, -v6
	v_mul_f32_e32 v6, v49, v154
	v_mov_b32_e32 v212, v248
	v_mov_b32_e32 v213, v248
	;; [unrolled: 1-line block ×3, first 2 shown]
	v_accvgpr_write_b32 a184, v4
	v_add_u32_e32 v4, 0x2800, v182
	v_fma_f32 v22, v48, v155, -v6
	v_mul_f32_e32 v6, v51, v166
	v_accvgpr_write_b32 a130, v248
	ds_read2_b64 v[128:131], v4 offset0:64 offset1:120
	ds_read2_b64 v[192:195], v43 offset0:32 offset1:88
	ds_read_b64 v[36:37], v182 offset:15232
	v_fma_f32 v28, v50, v167, -v6
	v_mul_f32_e32 v6, v49, v188
	v_accvgpr_write_b32 a131, v249
	v_mov_b32_e32 v20, v49
	v_mul_f32_e32 v232, v49, v153
	v_fma_f32 v180, v48, v189, -v6
	v_mul_f32_e32 v6, v51, v168
	v_mul_f32_e32 v153, v11, v157
	v_mov_b32_e32 v230, v49
	v_mov_b32_e32 v231, v11
	;; [unrolled: 1-line block ×4, first 2 shown]
	v_pk_mul_f32 v[164:165], v[20:21], v[158:159] op_sel:[0,1] op_sel_hi:[1,0]
	v_mov_b32_e32 v20, v23
	v_mul_f32_e32 v38, v48, v188
	v_fma_f32 v188, v50, v169, -v6
	v_mul_f32_e32 v6, v9, v178
	v_fmac_f32_e32 v153, v10, v156
	v_mov_b32_e32 v228, v190
	v_mov_b32_e32 v229, v157
	v_pk_mul_f32 v[156:157], v[230:231], v[248:249]
	v_pk_mul_f32 v[162:163], v[48:49], v[158:159]
	v_pk_fma_f32 v[158:159], v[48:49], v[158:159], v[20:21] op_sel:[0,1,0] op_sel_hi:[1,0,1] neg_lo:[0,0,1] neg_hi:[0,0,1]
	v_mul_f32_e32 v200, v48, v152
	v_mul_f32_e32 v234, v50, v150
	;; [unrolled: 1-line block ×3, first 2 shown]
	v_fma_f32 v150, v8, v179, -v6
	v_pk_fma_f32 v[230:231], v[240:241], v[190:191], v[156:157]
	v_pk_fma_f32 v[156:157], v[240:241], v[228:229], v[156:157] neg_lo:[0,0,1] neg_hi:[0,0,1]
	v_mov_b32_e32 v228, v178
	v_mov_b32_e32 v48, v9
	v_mov_b32_e32 v178, v179
	v_mov_b32_e32 v179, v190
	v_mov_b32_e32 v204, v244
	v_mov_b32_e32 v205, v244
	v_mov_b32_e32 v244, v245
	v_mul_f32_e32 v202, v49, v155
	v_mul_f32_e32 v40, v49, v189
	s_waitcnt lgkmcnt(1)
	v_mul_f32_e32 v155, v1, v195
	v_mov_b32_e32 v229, v191
	v_pk_mul_f32 v[48:49], v[48:49], v[178:179]
	v_accvgpr_write_b32 a126, v244
	v_fmac_f32_e32 v155, v0, v194
	s_waitcnt lgkmcnt(0)
	v_mul_f32_e32 v0, v3, v36
	v_pk_fma_f32 v[178:179], v[238:239], v[228:229], v[48:49]
	v_pk_fma_f32 v[190:191], v[238:239], v[228:229], v[48:49] neg_lo:[0,0,1] neg_hi:[0,0,1]
	v_mov_b32_e32 v228, v128
	v_mov_b32_e32 v229, v194
	v_accvgpr_write_b32 a127, v245
	v_mul_f32_e32 v244, v50, v166
	v_mul_f32_e32 v166, v50, v168
	v_fma_f32 v168, v2, v37, -v0
	v_mov_b32_e32 v48, v129
	v_mov_b32_e32 v49, v195
	v_pk_mul_f32 v[194:195], v[236:237], v[228:229]
	v_mov_b32_e32 v236, v36
	v_mov_b32_e32 v238, v3
	v_mov_b32_e32 v239, v206
	v_mov_b32_e32 v36, v37
	v_mov_b32_e32 v37, v128
	v_pk_fma_f32 v[228:229], v[206:207], v[48:49], v[194:195]
	v_pk_fma_f32 v[194:195], v[206:207], v[48:49], v[194:195] neg_lo:[0,0,1] neg_hi:[0,0,1]
	v_mov_b32_e32 v48, v2
	v_mov_b32_e32 v49, v50
	;; [unrolled: 1-line block ×3, first 2 shown]
	v_pk_mul_f32 v[36:37], v[238:239], v[36:37]
	v_mov_b32_e32 v210, v246
	v_mov_b32_e32 v211, v246
	;; [unrolled: 1-line block ×3, first 2 shown]
	v_pk_fma_f32 v[238:239], v[48:49], v[236:237], v[36:37]
	v_pk_fma_f32 v[36:37], v[48:49], v[236:237], v[36:37] neg_lo:[0,0,1] neg_hi:[0,0,1]
	v_mov_b32_e32 v152, v157
	v_mov_b32_e32 v154, v195
	v_accvgpr_write_b32 a128, v246
	v_mul_f32_e32 v172, v50, v148
	v_mul_f32_e32 v242, v51, v151
	;; [unrolled: 1-line block ×3, first 2 shown]
	v_add_f32_e32 v148, v153, v155
	v_mov_b32_e32 v231, v157
	v_mov_b32_e32 v179, v191
	;; [unrolled: 1-line block ×6, first 2 shown]
	v_pk_add_f32 v[128:129], v[152:153], v[154:155] neg_lo:[0,1] neg_hi:[0,1]
	v_mov_b32_e32 v36, v37
	v_mov_b32_e32 v37, v228
	;; [unrolled: 1-line block ×4, first 2 shown]
	v_accvgpr_write_b32 a129, v247
	v_mul_f32_e32 v174, v51, v149
	v_mul_f32_e32 v246, v51, v167
	v_add_f32_e32 v51, v150, v168
	v_pk_add_f32 v[48:49], v[150:151], v[168:169] neg_lo:[0,1] neg_hi:[0,1]
	v_pk_add_f32 v[150:151], v[230:231], v[228:229]
	v_pk_add_f32 v[152:153], v[178:179], v[238:239]
	v_pk_add_f32 v[36:37], v[36:37], v[154:155] neg_lo:[0,1] neg_hi:[0,1]
	v_mov_b32_e32 v214, v254
	v_mov_b32_e32 v215, v254
	;; [unrolled: 1-line block ×13, first 2 shown]
	s_mov_b32 s18, 0xbeae86e6
	v_accvgpr_write_b32 a140, v254
	v_pk_add_f32 v[154:155], v[148:149], v[50:51]
	v_pk_add_f32 v[156:157], v[156:157], v[168:169] neg_lo:[0,1] neg_hi:[0,1]
	v_pk_add_f32 v[248:249], v[152:153], v[150:151] neg_lo:[0,1] neg_hi:[0,1]
	v_pk_add_f32 v[168:169], v[36:37], v[128:129]
	v_pk_add_f32 v[178:179], v[178:179], v[190:191] neg_lo:[0,1] neg_hi:[0,1]
	v_mov_b32_e32 v190, v48
	v_mov_b32_e32 v37, v129
	;; [unrolled: 1-line block ×3, first 2 shown]
	s_mov_b32 s14, 0x3d64c772
	s_mov_b32 s19, 0x3f08b237
	v_accvgpr_write_b32 a141, v255
	v_pk_add_f32 v[254:255], v[190:191], v[36:37] neg_lo:[0,1] neg_hi:[0,1]
	v_pk_add_f32 v[36:37], v[150:151], v[154:155]
	s_mov_b32 s15, 0x3f4a47b2
	s_mov_b32 s20, s19
	;; [unrolled: 1-line block ×3, first 2 shown]
	v_pk_add_f32 v[152:153], v[132:133], v[36:37]
	s_mov_b32 s2, 0x3f955555
	v_pk_mul_f32 v[132:133], v[156:157], s[14:15]
	s_mov_b32 s16, s15
	s_mov_b32 s17, s14
	v_pk_mul_f32 v[156:157], v[178:179], s[20:21]
	v_pk_add_f32 v[150:151], v[168:169], v[48:49]
	s_mov_b32 s0, 0xbee1c552
	v_pk_fma_f32 v[154:155], v[36:37], s[2:3], v[152:153] op_sel_hi:[1,0,1] neg_lo:[1,0,0] neg_hi:[1,0,0]
	v_pk_fma_f32 v[36:37], v[248:249], s[16:17], v[132:133]
	v_pk_fma_f32 v[168:169], v[254:255], s[18:19], v[156:157]
	v_pk_add_f32 v[36:37], v[36:37], v[154:155]
	v_pk_fma_f32 v[168:169], v[150:151], s[0:1], v[168:169] op_sel_hi:[1,0,1]
	v_mov_b32_e32 v0, v177
	v_pk_add_f32 v[228:229], v[36:37], v[168:169] neg_lo:[0,1] neg_hi:[0,1]
	v_pk_add_f32 v[230:231], v[36:37], v[168:169]
	v_pk_mul_f32 v[36:37], v[8:9], v[176:177] op_sel_hi:[1,0]
	v_mov_b32_e32 v30, v1
	v_pk_fma_f32 v[178:179], v[8:9], v[0:1], v[36:37] op_sel:[0,0,1] op_sel_hi:[1,1,0] neg_lo:[0,0,1] neg_hi:[0,0,1]
	v_pk_fma_f32 v[36:37], v[8:9], v[176:177], v[36:37] op_sel:[0,1,1] op_sel_hi:[1,1,0]
	v_mov_b32_e32 v0, v147
	v_mov_b32_e32 v179, v37
	v_pk_mul_f32 v[36:37], v[10:11], v[146:147] op_sel_hi:[1,0]
	v_mov_b32_e32 v20, v1
	v_pk_fma_f32 v[176:177], v[10:11], v[0:1], v[36:37] op_sel:[0,0,1] op_sel_hi:[1,1,0] neg_lo:[0,0,1] neg_hi:[0,0,1]
	v_pk_fma_f32 v[36:37], v[10:11], v[146:147], v[36:37] op_sel:[0,1,1] op_sel_hi:[1,1,0]
	v_mov_b32_e32 v167, v178
	v_mov_b32_e32 v177, v37
	v_pk_mul_f32 v[36:37], v[206:207], v[192:193] op_sel:[1,0]
	v_mov_b32_e32 v39, v176
	v_pk_fma_f32 v[0:1], v[30:31], v[192:193], v[36:37] op_sel:[0,0,1] op_sel_hi:[0,1,0]
	v_pk_fma_f32 v[190:191], v[20:21], v[192:193], v[36:37] op_sel:[0,0,1] op_sel_hi:[1,1,0] neg_lo:[1,0,0] neg_hi:[1,0,0]
	v_mov_b32_e32 v0, v143
	v_pk_mul_f32 v[36:37], v[2:3], v[142:143] op_sel_hi:[1,0]
	v_mov_b32_e32 v191, v1
	v_pk_fma_f32 v[192:193], v[2:3], v[0:1], v[36:37] op_sel:[0,0,1] op_sel_hi:[1,1,0] neg_lo:[0,0,1] neg_hi:[0,0,1]
	v_pk_fma_f32 v[0:1], v[2:3], v[142:143], v[36:37] op_sel:[0,1,1] op_sel_hi:[1,1,0]
	v_mov_b32_e32 v171, v192
	v_mov_b32_e32 v193, v1
	;; [unrolled: 1-line block ×3, first 2 shown]
	v_pk_add_f32 v[0:1], v[178:179], v[192:193]
	v_pk_add_f32 v[142:143], v[178:179], v[192:193] neg_lo:[0,1] neg_hi:[0,1]
	v_pk_add_f32 v[170:171], v[166:167], v[170:171]
	v_pk_add_f32 v[178:179], v[38:39], v[40:41]
	v_mov_b32_e32 v189, v170
	v_mov_b32_e32 v181, v178
	v_pk_add_f32 v[168:169], v[176:177], v[190:191] neg_lo:[0,1] neg_hi:[0,1]
	v_pk_add_f32 v[36:37], v[188:189], v[180:181] neg_lo:[0,1] neg_hi:[0,1]
	v_mov_b32_e32 v208, v252
	v_mov_b32_e32 v209, v252
	;; [unrolled: 1-line block ×7, first 2 shown]
	v_accvgpr_write_b32 a132, v250
	v_accvgpr_write_b32 a134, v252
	v_pk_add_f32 v[38:39], v[38:39], v[40:41] neg_lo:[0,1] neg_hi:[0,1]
	v_accvgpr_write_b32 a133, v251
	v_mov_b32_e32 v108, v251
	v_accvgpr_write_b32 a135, v253
	ds_read2_b64 v[250:253], v182 offset0:112 offset1:168
	v_pk_add_f32 v[146:147], v[176:177], v[190:191]
	v_pk_mul_f32 v[166:167], v[38:39], s[20:21]
	v_mov_b32_e32 v38, v142
	v_mov_b32_e32 v39, v37
	;; [unrolled: 1-line block ×4, first 2 shown]
	v_pk_add_f32 v[36:37], v[36:37], v[168:169]
	v_pk_add_f32 v[6:7], v[38:39], v[40:41] neg_lo:[0,1] neg_hi:[0,1]
	v_pk_add_f32 v[176:177], v[36:37], v[142:143]
	v_mov_b32_e32 v36, v147
	v_mov_b32_e32 v37, v180
	;; [unrolled: 1-line block ×4, first 2 shown]
	v_pk_add_f32 v[36:37], v[36:37], v[38:39]
	v_pk_add_f32 v[38:39], v[178:179], v[170:171]
	v_mov_b32_e32 v40, v147
	v_mov_b32_e32 v170, v38
	v_mov_b32_e32 v41, v37
	v_pk_add_f32 v[40:41], v[170:171], v[40:41] neg_lo:[0,1] neg_hi:[0,1]
	v_mov_b32_e32 v180, v1
	v_mov_b32_e32 v181, v37
	;; [unrolled: 1-line block ×3, first 2 shown]
	v_pk_add_f32 v[36:37], v[36:37], v[38:39]
	v_mov_b32_e32 v12, v4
	v_pk_add_f32 v[4:5], v[180:181], v[178:179] neg_lo:[0,1] neg_hi:[0,1]
	s_waitcnt lgkmcnt(0)
	v_pk_add_f32 v[194:195], v[252:253], v[36:37]
	v_pk_mul_f32 v[192:193], v[40:41], s[14:15]
	v_pk_fma_f32 v[190:191], v[36:37], s[2:3], v[194:195] op_sel_hi:[1,0,1] neg_lo:[1,0,0] neg_hi:[1,0,0]
	v_pk_fma_f32 v[36:37], v[4:5], s[16:17], v[192:193]
	v_pk_fma_f32 v[38:39], v[6:7], s[18:19], v[166:167]
	v_pk_add_f32 v[36:37], v[36:37], v[190:191]
	v_pk_fma_f32 v[38:39], v[176:177], s[0:1], v[38:39] op_sel_hi:[1,0,1]
	v_mov_b32_e32 v0, v139
	v_pk_add_f32 v[180:181], v[36:37], v[38:39]
	v_pk_add_f32 v[188:189], v[36:37], v[38:39] neg_lo:[0,1] neg_hi:[0,1]
	ds_read2_b64 v[36:39], v12 offset0:176 offset1:232
	v_pk_mul_f32 v[40:41], v[8:9], v[138:139] op_sel_hi:[1,0]
	v_mov_b32_e32 v146, v12
	v_pk_fma_f32 v[236:237], v[8:9], v[0:1], v[40:41] op_sel:[0,0,1] op_sel_hi:[1,1,0] neg_lo:[0,0,1] neg_hi:[0,0,1]
	v_pk_fma_f32 v[40:41], v[8:9], v[138:139], v[40:41] op_sel:[0,1,1] op_sel_hi:[1,1,0]
	v_mov_b32_e32 v0, v145
	v_mov_b32_e32 v237, v41
	v_pk_mul_f32 v[40:41], v[10:11], v[144:145] op_sel_hi:[1,0]
	v_mov_b32_e32 v245, v236
	v_pk_fma_f32 v[252:253], v[10:11], v[0:1], v[40:41] op_sel:[0,0,1] op_sel_hi:[1,1,0] neg_lo:[0,0,1] neg_hi:[0,0,1]
	v_pk_fma_f32 v[40:41], v[10:11], v[144:145], v[40:41] op_sel:[0,1,1] op_sel_hi:[1,1,0]
	v_mov_b32_e32 v0, v141
	v_mov_b32_e32 v253, v41
	s_waitcnt lgkmcnt(0)
	v_pk_mul_f32 v[40:41], v[206:207], v[38:39] op_sel:[1,0]
	v_mov_b32_e32 v187, v252
	v_pk_fma_f32 v[24:25], v[20:21], v[38:39], v[40:41] op_sel:[0,0,1] op_sel_hi:[1,1,0] neg_lo:[1,0,0] neg_hi:[1,0,0]
	v_pk_fma_f32 v[26:27], v[30:31], v[38:39], v[40:41] op_sel:[0,0,1] op_sel_hi:[0,1,0]
	v_mov_b32_e32 v25, v27
	v_pk_mul_f32 v[26:27], v[2:3], v[140:141] op_sel_hi:[1,0]
	v_mov_b32_e32 v203, v24
	v_pk_fma_f32 v[38:39], v[2:3], v[0:1], v[26:27] op_sel:[0,0,1] op_sel_hi:[1,1,0] neg_lo:[0,0,1] neg_hi:[0,0,1]
	v_pk_fma_f32 v[26:27], v[2:3], v[140:141], v[26:27] op_sel:[0,1,1] op_sel_hi:[1,1,0]
	v_mov_b32_e32 v247, v38
	v_pk_add_f32 v[240:241], v[244:245], v[246:247]
	v_pk_add_f32 v[246:247], v[186:187], v[202:203]
	v_mov_b32_e32 v39, v27
	v_mov_b32_e32 v29, v240
	;; [unrolled: 1-line block ×3, first 2 shown]
	v_pk_add_f32 v[140:141], v[236:237], v[38:39] neg_lo:[0,1] neg_hi:[0,1]
	v_pk_add_f32 v[144:145], v[252:253], v[24:25]
	v_pk_add_f32 v[238:239], v[252:253], v[24:25] neg_lo:[0,1] neg_hi:[0,1]
	v_pk_add_f32 v[24:25], v[28:29], v[22:23] neg_lo:[0,1] neg_hi:[0,1]
	v_pk_add_f32 v[138:139], v[236:237], v[38:39]
	v_mov_b32_e32 v26, v24
	v_mov_b32_e32 v27, v141
	;; [unrolled: 1-line block ×4, first 2 shown]
	v_pk_add_f32 v[26:27], v[26:27], v[38:39] neg_lo:[0,1] neg_hi:[0,1]
	v_mov_b32_e32 v38, v24
	v_pk_mul_f32 v[236:237], v[26:27], s[20:21]
	v_mov_b32_e32 v27, v25
	v_pk_add_f32 v[24:25], v[24:25], v[238:239]
	v_mov_b32_e32 v23, v28
	v_pk_add_f32 v[244:245], v[24:25], v[140:141]
	v_mov_b32_e32 v24, v145
	v_mov_b32_e32 v25, v22
	;; [unrolled: 1-line block ×3, first 2 shown]
	v_pk_add_f32 v[22:23], v[24:25], v[22:23]
	v_pk_add_f32 v[24:25], v[246:247], v[240:241]
	v_mov_b32_e32 v26, v140
	v_mov_b32_e32 v39, v239
	;; [unrolled: 1-line block ×5, first 2 shown]
	v_pk_add_f32 v[26:27], v[26:27], v[38:39] neg_lo:[0,1] neg_hi:[0,1]
	v_pk_add_f32 v[38:39], v[240:241], v[28:29] neg_lo:[0,1] neg_hi:[0,1]
	v_mov_b32_e32 v28, v139
	v_mov_b32_e32 v246, v24
	v_pk_add_f32 v[22:23], v[22:23], v[24:25]
	v_pk_add_f32 v[44:45], v[28:29], v[246:247] neg_lo:[0,1] neg_hi:[0,1]
	v_pk_add_f32 v[28:29], v[250:251], v[22:23]
	v_pk_mul_f32 v[202:203], v[38:39], s[14:15]
	v_pk_fma_f32 v[186:187], v[22:23], s[2:3], v[28:29] op_sel_hi:[1,0,1] neg_lo:[1,0,0] neg_hi:[1,0,0]
	v_pk_fma_f32 v[22:23], v[44:45], s[16:17], v[202:203]
	v_pk_fma_f32 v[24:25], v[26:27], s[18:19], v[236:237]
	v_pk_add_f32 v[22:23], v[22:23], v[186:187]
	v_pk_fma_f32 v[24:25], v[244:245], s[0:1], v[24:25] op_sel_hi:[1,0,1]
	v_mov_b32_e32 v0, v137
	v_pk_add_f32 v[250:251], v[22:23], v[24:25]
	v_pk_add_f32 v[252:253], v[22:23], v[24:25] neg_lo:[0,1] neg_hi:[0,1]
	v_pk_mul_f32 v[22:23], v[8:9], v[136:137] op_sel_hi:[1,0]
	ds_read2_b64 v[38:41], v182 offset1:56
	v_pk_fma_f32 v[24:25], v[8:9], v[0:1], v[22:23] op_sel:[0,0,1] op_sel_hi:[1,1,0] neg_lo:[0,0,1] neg_hi:[0,0,1]
	v_pk_fma_f32 v[22:23], v[8:9], v[136:137], v[22:23] op_sel:[0,1,1] op_sel_hi:[1,1,0]
	v_mov_b32_e32 v0, v127
	v_mov_b32_e32 v25, v23
	v_pk_mul_f32 v[22:23], v[10:11], v[126:127] op_sel_hi:[1,0]
	v_mov_b32_e32 v235, v24
	v_pk_fma_f32 v[46:47], v[10:11], v[0:1], v[22:23] op_sel:[0,0,1] op_sel_hi:[1,1,0] neg_lo:[0,0,1] neg_hi:[0,0,1]
	v_pk_fma_f32 v[22:23], v[10:11], v[126:127], v[22:23] op_sel:[0,1,1] op_sel_hi:[1,1,0]
	v_mov_b32_e32 v0, v123
	v_mov_b32_e32 v47, v23
	v_pk_mul_f32 v[22:23], v[206:207], v[36:37] op_sel:[1,0]
	v_mov_b32_e32 v201, v46
	v_pk_fma_f32 v[126:127], v[20:21], v[36:37], v[22:23] op_sel:[0,0,1] op_sel_hi:[1,1,0] neg_lo:[1,0,0] neg_hi:[1,0,0]
	v_pk_fma_f32 v[22:23], v[30:31], v[36:37], v[22:23] op_sel:[0,0,1] op_sel_hi:[0,1,0]
	v_mov_b32_e32 v127, v23
	v_pk_mul_f32 v[22:23], v[2:3], v[122:123] op_sel_hi:[1,0]
	v_mov_b32_e32 v233, v126
	v_pk_fma_f32 v[36:37], v[2:3], v[0:1], v[22:23] op_sel:[0,0,1] op_sel_hi:[1,1,0] neg_lo:[0,0,1] neg_hi:[0,0,1]
	v_pk_fma_f32 v[22:23], v[2:3], v[122:123], v[22:23] op_sel:[0,1,1] op_sel_hi:[1,1,0]
	v_mov_b32_e32 v243, v36
	v_mov_b32_e32 v37, v23
	v_pk_add_f32 v[22:23], v[24:25], v[36:37]
	v_pk_add_f32 v[122:123], v[24:25], v[36:37] neg_lo:[0,1] neg_hi:[0,1]
	v_pk_add_f32 v[24:25], v[234:235], v[242:243]
	v_pk_add_f32 v[36:37], v[200:201], v[232:233]
	v_mov_b32_e32 v199, v24
	v_mov_b32_e32 v197, v36
	v_pk_add_f32 v[136:137], v[46:47], v[126:127]
	v_pk_add_f32 v[54:55], v[46:47], v[126:127] neg_lo:[0,1] neg_hi:[0,1]
	v_pk_add_f32 v[46:47], v[198:199], v[196:197] neg_lo:[0,1] neg_hi:[0,1]
	v_mov_b32_e32 v127, v123
	v_mov_b32_e32 v126, v46
	;; [unrolled: 1-line block ×4, first 2 shown]
	v_pk_add_f32 v[126:127], v[126:127], v[200:201] neg_lo:[0,1] neg_hi:[0,1]
	v_mov_b32_e32 v200, v122
	v_mov_b32_e32 v232, v46
	v_mov_b32_e32 v233, v55
	v_pk_add_f32 v[200:201], v[200:201], v[232:233] neg_lo:[0,1] neg_hi:[0,1]
	v_mov_b32_e32 v232, v137
	v_mov_b32_e32 v233, v196
	;; [unrolled: 1-line block ×4, first 2 shown]
	v_pk_add_f32 v[196:197], v[232:233], v[196:197]
	v_pk_add_f32 v[198:199], v[36:37], v[24:25]
	v_mov_b32_e32 v233, v197
	v_mov_b32_e32 v24, v198
	;; [unrolled: 1-line block ×4, first 2 shown]
	v_pk_add_f32 v[196:197], v[196:197], v[198:199]
	v_mov_b32_e32 v0, v135
	v_pk_mul_f32 v[198:199], v[8:9], v[134:135] op_sel_hi:[1,0]
	s_waitcnt lgkmcnt(0)
	v_pk_add_f32 v[40:41], v[40:41], v[196:197]
	v_pk_fma_f32 v[134:135], v[8:9], v[134:135], v[198:199] op_sel:[0,1,1] op_sel_hi:[1,1,0]
	v_pk_fma_f32 v[198:199], v[8:9], v[0:1], v[198:199] op_sel:[0,0,1] op_sel_hi:[1,1,0] neg_lo:[0,0,1] neg_hi:[0,0,1]
	v_mov_b32_e32 v0, v125
	v_pk_mul_f32 v[8:9], v[10:11], v[124:125] op_sel_hi:[1,0]
	v_pk_add_f32 v[232:233], v[24:25], v[232:233] neg_lo:[0,1] neg_hi:[0,1]
	v_mov_b32_e32 v234, v23
	v_pk_fma_f32 v[124:125], v[10:11], v[124:125], v[8:9] op_sel:[0,1,1] op_sel_hi:[1,1,0]
	v_pk_fma_f32 v[14:15], v[196:197], s[2:3], v[40:41] op_sel_hi:[1,0,1] neg_lo:[1,0,0] neg_hi:[1,0,0]
	v_pk_fma_f32 v[196:197], v[10:11], v[0:1], v[8:9] op_sel:[0,0,1] op_sel_hi:[1,1,0] neg_lo:[0,0,1] neg_hi:[0,0,1]
	v_pk_add_f32 v[242:243], v[234:235], v[36:37] neg_lo:[0,1] neg_hi:[0,1]
	v_pk_mul_f32 v[12:13], v[232:233], s[14:15]
	v_mov_b32_e32 v197, v125
	v_pk_mul_f32 v[124:125], v[206:207], v[130:131] op_sel:[1,0]
	v_pk_fma_f32 v[8:9], v[242:243], s[16:17], v[12:13]
	v_mov_b32_e32 v199, v135
	v_pk_mul_f32 v[134:135], v[4:5], s[16:17]
	v_pk_mul_f32 v[4:5], v[242:243], s[16:17]
	v_pk_fma_f32 v[242:243], v[20:21], v[130:131], v[124:125] op_sel:[0,0,1] op_sel_hi:[1,1,0] neg_lo:[1,0,0] neg_hi:[1,0,0]
	v_pk_fma_f32 v[124:125], v[30:31], v[130:131], v[124:125] op_sel:[0,0,1] op_sel_hi:[0,1,0]
	v_mov_b32_e32 v243, v125
	v_mov_b32_e32 v0, v121
	v_pk_mul_f32 v[124:125], v[2:3], v[120:121] op_sel_hi:[1,0]
	v_mov_b32_e32 v173, v198
	v_pk_fma_f32 v[130:131], v[2:3], v[0:1], v[124:125] op_sel:[0,0,1] op_sel_hi:[1,1,0] neg_lo:[0,0,1] neg_hi:[0,0,1]
	v_pk_fma_f32 v[2:3], v[2:3], v[120:121], v[124:125] op_sel:[0,1,1] op_sel_hi:[1,1,0]
	v_mov_b32_e32 v175, v130
	v_mov_b32_e32 v131, v3
	v_mov_b32_e32 v163, v196
	v_mov_b32_e32 v165, v242
	v_pk_mul_f32 v[126:127], v[126:127], s[20:21]
	v_pk_add_f32 v[46:47], v[46:47], v[54:55]
	v_pk_add_f32 v[2:3], v[198:199], v[130:131]
	v_pk_add_f32 v[120:121], v[198:199], v[130:131] neg_lo:[0,1] neg_hi:[0,1]
	v_pk_add_f32 v[130:131], v[172:173], v[174:175]
	v_pk_add_f32 v[162:163], v[162:163], v[164:165]
	;; [unrolled: 1-line block ×3, first 2 shown]
	v_pk_fma_f32 v[10:11], v[200:201], s[18:19], v[126:127]
	v_pk_add_f32 v[124:125], v[196:197], v[242:243]
	v_mov_b32_e32 v161, v130
	v_mov_b32_e32 v159, v162
	v_pk_add_f32 v[8:9], v[8:9], v[14:15]
	v_pk_fma_f32 v[10:11], v[46:47], s[0:1], v[10:11] op_sel_hi:[1,0,1]
	v_pk_add_f32 v[164:165], v[160:161], v[158:159] neg_lo:[0,1] neg_hi:[0,1]
	v_mov_b32_e32 v198, v125
	v_mov_b32_e32 v199, v158
	;; [unrolled: 1-line block ×4, first 2 shown]
	v_pk_add_f32 v[16:17], v[8:9], v[10:11]
	v_pk_add_f32 v[18:19], v[8:9], v[10:11] neg_lo:[0,1] neg_hi:[0,1]
	v_pk_mul_f32 v[10:11], v[248:249], s[16:17]
	v_pk_add_f32 v[248:249], v[196:197], v[242:243] neg_lo:[0,1] neg_hi:[0,1]
	v_pk_add_f32 v[158:159], v[198:199], v[158:159]
	v_pk_add_f32 v[160:161], v[162:163], v[130:131]
	v_mov_b32_e32 v172, v164
	v_mov_b32_e32 v173, v121
	;; [unrolled: 1-line block ×6, first 2 shown]
	v_pk_add_f32 v[172:173], v[172:173], v[174:175] neg_lo:[0,1] neg_hi:[0,1]
	v_mov_b32_e32 v174, v120
	v_mov_b32_e32 v196, v164
	;; [unrolled: 1-line block ×3, first 2 shown]
	v_pk_add_f32 v[198:199], v[130:131], v[198:199] neg_lo:[0,1] neg_hi:[0,1]
	v_mov_b32_e32 v242, v3
	v_mov_b32_e32 v243, v159
	;; [unrolled: 1-line block ×3, first 2 shown]
	v_pk_add_f32 v[158:159], v[158:159], v[160:161]
	v_accvgpr_read_b32 v8, a158
	v_pk_mul_f32 v[172:173], v[172:173], s[20:21]
	v_pk_add_f32 v[174:175], v[174:175], v[196:197] neg_lo:[0,1] neg_hi:[0,1]
	v_pk_add_f32 v[164:165], v[164:165], v[248:249]
	v_pk_add_f32 v[242:243], v[242:243], v[162:163] neg_lo:[0,1] neg_hi:[0,1]
	v_pk_add_f32 v[38:39], v[38:39], v[158:159]
	v_pk_mul_f32 v[160:161], v[198:199], s[14:15]
	v_accvgpr_read_b32 v9, a159
	v_pk_mul_f32 v[196:197], v[174:175], s[18:19]
	v_pk_add_f32 v[164:165], v[164:165], v[120:121]
	v_pk_mul_f32 v[198:199], v[242:243], s[16:17]
	v_pk_fma_f32 v[158:159], v[158:159], s[2:3], v[38:39] op_sel_hi:[1,0,1] neg_lo:[1,0,0] neg_hi:[1,0,0]
	v_pk_fma_f32 v[242:243], v[242:243], s[16:17], v[160:161]
	v_pk_fma_f32 v[174:175], v[174:175], s[18:19], v[172:173]
	v_mov_b32_e32 v234, v8
	v_mov_b32_e32 v235, v8
	;; [unrolled: 1-line block ×3, first 2 shown]
	v_accvgpr_write_b32 a159, v9
	v_pk_add_f32 v[242:243], v[242:243], v[158:159]
	v_pk_fma_f32 v[174:175], v[164:165], s[0:1], v[174:175] op_sel_hi:[1,0,1]
	v_accvgpr_write_b32 a158, v8
	v_pk_mul_f32 v[8:9], v[254:255], s[18:19]
	v_pk_add_f32 v[254:255], v[242:243], v[174:175]
	v_pk_add_f32 v[174:175], v[242:243], v[174:175] neg_lo:[0,1] neg_hi:[0,1]
	v_mov_b32_e32 v242, v254
	v_mov_b32_e32 v243, v175
	v_accvgpr_read_b32 v0, a84
	v_mov_b32_e32 v162, v125
	v_mov_b32_e32 v130, v3
	s_waitcnt lgkmcnt(0)
	; wave barrier
	ds_write2_b64 v0, v[38:39], v[242:243] offset1:4
	v_pk_add_f32 v[38:39], v[248:249], v[120:121] neg_lo:[0,1] neg_hi:[0,1]
	s_mov_b32 s2, 0xbf5ff5aa
	v_pk_add_f32 v[2:3], v[162:163], v[130:131] neg_lo:[0,1] neg_hi:[0,1]
	s_mov_b32 s14, 0x3f3bfb3b
	v_mov_b32_e32 v120, v198
	v_mov_b32_e32 v121, v161
	;; [unrolled: 1-line block ×6, first 2 shown]
	v_pk_fma_f32 v[120:121], v[2:3], s[14:15], v[120:121] op_sel_hi:[1,0,1] neg_lo:[1,0,1] neg_hi:[1,0,1]
	v_pk_fma_f32 v[124:125], v[38:39], s[2:3], v[124:125] op_sel_hi:[1,0,1] neg_lo:[1,0,1] neg_hi:[1,0,1]
	;; [unrolled: 1-line block ×4, first 2 shown]
	v_pk_add_f32 v[120:121], v[120:121], v[158:159]
	v_pk_fma_f32 v[124:125], v[164:165], s[0:1], v[124:125] op_sel_hi:[1,0,1]
	v_pk_add_f32 v[2:3], v[2:3], v[158:159]
	v_pk_fma_f32 v[38:39], v[164:165], s[0:1], v[38:39] op_sel_hi:[1,0,1]
	v_pk_add_f32 v[130:131], v[120:121], v[124:125]
	v_pk_add_f32 v[120:121], v[120:121], v[124:125] neg_lo:[0,1] neg_hi:[0,1]
	v_pk_add_f32 v[158:159], v[2:3], v[38:39] neg_lo:[0,1] neg_hi:[0,1]
	v_pk_add_f32 v[2:3], v[2:3], v[38:39]
	v_mov_b32_e32 v124, v130
	v_mov_b32_e32 v125, v121
	;; [unrolled: 1-line block ×7, first 2 shown]
	v_pk_mul_f32 v[200:201], v[200:201], s[18:19]
	ds_write2_b64 v0, v[124:125], v[38:39] offset0:8 offset1:12
	ds_write2_b64 v0, v[2:3], v[120:121] offset0:16 offset1:20
	ds_write_b64 v0, v[174:175] offset:192
	v_mov_b32_e32 v2, v16
	v_mov_b32_e32 v3, v19
	v_accvgpr_read_b32 v0, a109
	v_mov_b32_e32 v36, v137
	v_mov_b32_e32 v24, v23
	ds_write2_b64 v0, v[40:41], v[2:3] offset1:4
	v_pk_add_f32 v[2:3], v[54:55], v[122:123] neg_lo:[0,1] neg_hi:[0,1]
	v_pk_add_f32 v[22:23], v[36:37], v[24:25] neg_lo:[0,1] neg_hi:[0,1]
	v_mov_b32_e32 v24, v4
	v_mov_b32_e32 v25, v13
	;; [unrolled: 1-line block ×6, first 2 shown]
	v_pk_fma_f32 v[24:25], v[22:23], s[14:15], v[24:25] op_sel_hi:[1,0,1] neg_lo:[1,0,1] neg_hi:[1,0,1]
	v_pk_fma_f32 v[36:37], v[2:3], s[2:3], v[36:37] op_sel_hi:[1,0,1] neg_lo:[1,0,1] neg_hi:[1,0,1]
	;; [unrolled: 1-line block ×4, first 2 shown]
	v_pk_add_f32 v[24:25], v[24:25], v[14:15]
	v_pk_fma_f32 v[36:37], v[46:47], s[0:1], v[36:37] op_sel_hi:[1,0,1]
	v_pk_add_f32 v[12:13], v[12:13], v[14:15]
	v_pk_fma_f32 v[2:3], v[46:47], s[0:1], v[2:3] op_sel_hi:[1,0,1]
	v_pk_add_f32 v[38:39], v[24:25], v[36:37]
	v_pk_add_f32 v[24:25], v[24:25], v[36:37] neg_lo:[0,1] neg_hi:[0,1]
	v_pk_add_f32 v[14:15], v[12:13], v[2:3] neg_lo:[0,1] neg_hi:[0,1]
	v_pk_add_f32 v[2:3], v[12:13], v[2:3]
	v_mov_b32_e32 v36, v38
	v_mov_b32_e32 v37, v25
	v_mov_b32_e32 v12, v14
	v_mov_b32_e32 v13, v3
	v_mov_b32_e32 v3, v15
	v_mov_b32_e32 v25, v39
	v_mov_b32_e32 v19, v17
	v_pk_mul_f32 v[26:27], v[26:27], s[18:19]
	v_pk_mul_f32 v[44:45], v[44:45], s[16:17]
	ds_write2_b64 v0, v[36:37], v[12:13] offset0:8 offset1:12
	ds_write2_b64 v0, v[2:3], v[24:25] offset0:16 offset1:20
	ds_write_b64 v0, v[18:19] offset:192
	v_mov_b32_e32 v2, v250
	v_mov_b32_e32 v3, v253
	v_accvgpr_read_b32 v0, a123
	v_mov_b32_e32 v246, v145
	v_mov_b32_e32 v240, v139
	ds_write2_b64 v0, v[28:29], v[2:3] offset1:4
	v_pk_add_f32 v[2:3], v[238:239], v[140:141] neg_lo:[0,1] neg_hi:[0,1]
	v_pk_add_f32 v[12:13], v[246:247], v[240:241] neg_lo:[0,1] neg_hi:[0,1]
	v_mov_b32_e32 v14, v44
	v_mov_b32_e32 v15, v203
	;; [unrolled: 1-line block ×6, first 2 shown]
	v_pk_fma_f32 v[14:15], v[12:13], s[14:15], v[14:15] op_sel_hi:[1,0,1] neg_lo:[1,0,1] neg_hi:[1,0,1]
	v_pk_fma_f32 v[16:17], v[2:3], s[2:3], v[16:17] op_sel_hi:[1,0,1] neg_lo:[1,0,1] neg_hi:[1,0,1]
	;; [unrolled: 1-line block ×4, first 2 shown]
	v_pk_add_f32 v[14:15], v[14:15], v[186:187]
	v_pk_fma_f32 v[16:17], v[244:245], s[0:1], v[16:17] op_sel_hi:[1,0,1]
	v_pk_add_f32 v[12:13], v[12:13], v[186:187]
	v_pk_fma_f32 v[2:3], v[244:245], s[0:1], v[2:3] op_sel_hi:[1,0,1]
	v_pk_add_f32 v[18:19], v[14:15], v[16:17]
	v_pk_add_f32 v[14:15], v[14:15], v[16:17] neg_lo:[0,1] neg_hi:[0,1]
	v_pk_add_f32 v[22:23], v[12:13], v[2:3] neg_lo:[0,1] neg_hi:[0,1]
	v_pk_add_f32 v[2:3], v[12:13], v[2:3]
	v_mov_b32_e32 v17, v15
	v_mov_b32_e32 v13, v3
	;; [unrolled: 1-line block ×4, first 2 shown]
	v_pk_mul_f32 v[6:7], v[6:7], s[18:19]
	v_mov_b32_e32 v16, v18
	v_mov_b32_e32 v12, v22
	ds_write2_b64 v0, v[2:3], v[14:15] offset0:16 offset1:20
	v_mov_b32_e32 v253, v251
	v_mov_b32_e32 v2, v180
	;; [unrolled: 1-line block ×3, first 2 shown]
	v_accvgpr_read_b32 v4, a89
	v_mov_b32_e32 v178, v147
	v_mov_b32_e32 v170, v1
	ds_write2_b64 v0, v[16:17], v[12:13] offset0:8 offset1:12
	ds_write_b64 v0, v[252:253] offset:192
	ds_write2_b64 v4, v[194:195], v[2:3] offset1:4
	v_pk_add_f32 v[2:3], v[168:169], v[142:143] neg_lo:[0,1] neg_hi:[0,1]
	v_pk_add_f32 v[0:1], v[178:179], v[170:171] neg_lo:[0,1] neg_hi:[0,1]
	v_mov_b32_e32 v12, v134
	v_mov_b32_e32 v13, v193
	;; [unrolled: 1-line block ×6, first 2 shown]
	v_pk_fma_f32 v[12:13], v[0:1], s[14:15], v[12:13] op_sel_hi:[1,0,1] neg_lo:[1,0,1] neg_hi:[1,0,1]
	v_pk_fma_f32 v[14:15], v[2:3], s[2:3], v[14:15] op_sel_hi:[1,0,1] neg_lo:[1,0,1] neg_hi:[1,0,1]
	;; [unrolled: 1-line block ×4, first 2 shown]
	v_pk_add_f32 v[12:13], v[12:13], v[190:191]
	v_pk_fma_f32 v[14:15], v[176:177], s[0:1], v[14:15] op_sel_hi:[1,0,1]
	v_pk_add_f32 v[0:1], v[0:1], v[190:191]
	v_pk_fma_f32 v[2:3], v[176:177], s[0:1], v[2:3] op_sel_hi:[1,0,1]
	v_pk_add_f32 v[16:17], v[12:13], v[14:15]
	v_pk_add_f32 v[12:13], v[12:13], v[14:15] neg_lo:[0,1] neg_hi:[0,1]
	v_pk_add_f32 v[6:7], v[0:1], v[2:3] neg_lo:[0,1] neg_hi:[0,1]
	v_pk_add_f32 v[0:1], v[0:1], v[2:3]
	v_mov_b32_e32 v14, v16
	v_mov_b32_e32 v15, v13
	v_mov_b32_e32 v2, v6
	v_mov_b32_e32 v3, v1
	v_mov_b32_e32 v1, v7
	v_mov_b32_e32 v13, v17
	v_mov_b32_e32 v189, v181
	ds_write2_b64 v4, v[14:15], v[2:3] offset0:8 offset1:12
	ds_write2_b64 v4, v[0:1], v[12:13] offset0:16 offset1:20
	ds_write_b64 v4, v[188:189] offset:192
	v_mov_b32_e32 v0, v230
	v_mov_b32_e32 v1, v229
	v_accvgpr_read_b32 v4, a136
	ds_write2_b64 v4, v[152:153], v[0:1] offset1:4
	v_pk_add_f32 v[0:1], v[148:149], v[50:51] neg_lo:[0,1] neg_hi:[0,1]
	v_pk_add_f32 v[2:3], v[128:129], v[48:49] neg_lo:[0,1] neg_hi:[0,1]
	v_mov_b32_e32 v6, v10
	v_mov_b32_e32 v7, v133
	;; [unrolled: 1-line block ×6, first 2 shown]
	v_pk_fma_f32 v[6:7], v[0:1], s[14:15], v[6:7] op_sel_hi:[1,0,1] neg_lo:[1,0,1] neg_hi:[1,0,1]
	v_pk_fma_f32 v[12:13], v[2:3], s[2:3], v[12:13] op_sel_hi:[1,0,1] neg_lo:[1,0,1] neg_hi:[1,0,1]
	;; [unrolled: 1-line block ×4, first 2 shown]
	v_pk_add_f32 v[6:7], v[6:7], v[154:155]
	v_pk_fma_f32 v[12:13], v[150:151], s[0:1], v[12:13] op_sel_hi:[1,0,1]
	v_pk_add_f32 v[0:1], v[0:1], v[154:155]
	v_pk_fma_f32 v[2:3], v[150:151], s[0:1], v[2:3] op_sel_hi:[1,0,1]
	v_pk_add_f32 v[14:15], v[6:7], v[12:13]
	v_pk_add_f32 v[6:7], v[6:7], v[12:13] neg_lo:[0,1] neg_hi:[0,1]
	v_pk_add_f32 v[8:9], v[0:1], v[2:3] neg_lo:[0,1] neg_hi:[0,1]
	v_pk_add_f32 v[0:1], v[0:1], v[2:3]
	v_mov_b32_e32 v12, v14
	v_mov_b32_e32 v13, v7
	;; [unrolled: 1-line block ×7, first 2 shown]
	ds_write2_b64 v4, v[12:13], v[2:3] offset0:8 offset1:12
	ds_write2_b64 v4, v[0:1], v[6:7] offset0:16 offset1:20
	ds_write_b64 v4, v[228:229] offset:192
	v_accvgpr_read_b32 v4, a183
	s_waitcnt lgkmcnt(0)
	; wave barrier
	s_waitcnt lgkmcnt(0)
	ds_read2_b64 v[172:175], v182 offset1:56
	ds_read2_b64 v[0:3], v183 offset0:128 offset1:212
	ds_read2_b64 v[168:171], v42 offset0:12 offset1:68
	;; [unrolled: 1-line block ×5, first 2 shown]
	v_accvgpr_read_b32 v4, a185
	ds_read2_b64 v[152:155], v4 offset0:108 offset1:164
	ds_read2_b64 v[148:151], v21 offset0:80 offset1:136
	;; [unrolled: 1-line block ×4, first 2 shown]
	v_add_u32_e32 v4, 0x2c00, v182
	ds_read2_b64 v[136:139], v4 offset0:76 offset1:132
	ds_read2_b64 v[132:135], v31 offset0:48 offset1:104
	;; [unrolled: 1-line block ×6, first 2 shown]
	v_accvgpr_read_b32 v4, a184
	ds_read2_b64 v[8:11], v4 offset0:28 offset1:84
	v_accvgpr_read_b32 v44, a138
	v_accvgpr_read_b32 v45, a139
	;; [unrolled: 1-line block ×6, first 2 shown]
	v_mov_b32_e32 v28, v44
	v_mov_b32_e32 v29, v44
	;; [unrolled: 1-line block ×3, first 2 shown]
	s_and_saveexec_b64 s[0:1], s[4:5]
	s_cbranch_execz .LBB0_21
; %bb.20:
	ds_read_b64 v[228:229], v182 offset:7616
	ds_read_b64 v[118:119], v182 offset:15456
	s_waitcnt lgkmcnt(1)
	v_mov_b32_e32 v231, v229
.LBB0_21:
	s_or_b64 exec, exec, s[0:1]
	v_accvgpr_read_b32 v4, a134
	v_accvgpr_read_b32 v5, a135
	s_waitcnt lgkmcnt(14)
	v_pk_mul_f32 v[4:5], v[4:5], v[2:3]
	s_waitcnt lgkmcnt(0)
	v_pk_fma_f32 v[6:7], v[208:209], v[2:3], v[4:5] op_sel:[0,0,1] op_sel_hi:[1,1,0]
	v_pk_fma_f32 v[2:3], v[208:209], v[2:3], v[4:5] op_sel:[0,0,1] op_sel_hi:[1,1,0] neg_lo:[0,0,1] neg_hi:[0,0,1]
	; wave barrier
	s_nop 0
	v_mov_b32_e32 v7, v3
	v_pk_add_f32 v[2:3], v[172:173], v[6:7] neg_lo:[0,1] neg_hi:[0,1]
	v_accvgpr_read_b32 v6, a169
	v_pk_fma_f32 v[4:5], v[172:173], 2.0, v[2:3] op_sel_hi:[1,0,1] neg_lo:[0,0,1] neg_hi:[0,0,1]
	ds_write2_b64 v6, v[4:5], v[2:3] offset1:28
	v_accvgpr_read_b32 v2, a130
	v_accvgpr_read_b32 v3, a131
	v_pk_mul_f32 v[2:3], v[2:3], v[168:169]
	v_accvgpr_read_b32 v6, a128
	v_pk_fma_f32 v[4:5], v[212:213], v[168:169], v[2:3] op_sel:[0,0,1] op_sel_hi:[1,1,0]
	v_pk_fma_f32 v[2:3], v[212:213], v[168:169], v[2:3] op_sel:[0,0,1] op_sel_hi:[1,1,0] neg_lo:[0,0,1] neg_hi:[0,0,1]
	v_accvgpr_read_b32 v7, a129
	v_mov_b32_e32 v5, v3
	v_pk_add_f32 v[2:3], v[174:175], v[4:5] neg_lo:[0,1] neg_hi:[0,1]
	v_pk_mul_f32 v[6:7], v[6:7], v[170:171]
	v_pk_mul_f32 v[42:43], v[46:47], v[8:9]
	v_pk_fma_f32 v[4:5], v[174:175], 2.0, v[2:3] op_sel_hi:[1,0,1] neg_lo:[0,0,1] neg_hi:[0,0,1]
	v_accvgpr_read_b32 v46, a137
	ds_write2_b64 v46, v[4:5], v[2:3] offset1:28
	v_pk_fma_f32 v[2:3], v[210:211], v[170:171], v[6:7] op_sel:[0,0,1] op_sel_hi:[1,1,0]
	v_pk_fma_f32 v[4:5], v[210:211], v[170:171], v[6:7] op_sel:[0,0,1] op_sel_hi:[1,1,0] neg_lo:[0,0,1] neg_hi:[0,0,1]
	v_accvgpr_read_b32 v12, a126
	v_mov_b32_e32 v3, v5
	v_accvgpr_read_b32 v13, a127
	v_pk_add_f32 v[2:3], v[164:165], v[2:3] neg_lo:[0,1] neg_hi:[0,1]
	v_pk_mul_f32 v[12:13], v[12:13], v[160:161]
	v_pk_fma_f32 v[4:5], v[164:165], 2.0, v[2:3] op_sel_hi:[1,0,1] neg_lo:[0,0,1] neg_hi:[0,0,1]
	v_accvgpr_read_b32 v6, a164
	ds_write2_b64 v6, v[4:5], v[2:3] offset1:28
	v_pk_fma_f32 v[2:3], v[204:205], v[160:161], v[12:13] op_sel:[0,0,1] op_sel_hi:[1,1,0]
	v_pk_fma_f32 v[4:5], v[204:205], v[160:161], v[12:13] op_sel:[0,0,1] op_sel_hi:[1,1,0] neg_lo:[0,0,1] neg_hi:[0,0,1]
	v_accvgpr_read_b32 v14, a146
	v_mov_b32_e32 v3, v5
	v_accvgpr_read_b32 v15, a147
	v_pk_add_f32 v[2:3], v[166:167], v[2:3] neg_lo:[0,1] neg_hi:[0,1]
	v_pk_mul_f32 v[14:15], v[14:15], v[162:163]
	v_pk_fma_f32 v[4:5], v[166:167], 2.0, v[2:3] op_sel_hi:[1,0,1] neg_lo:[0,0,1] neg_hi:[0,0,1]
	v_accvgpr_read_b32 v6, a165
	ds_write2_b64 v6, v[4:5], v[2:3] offset1:28
	v_pk_fma_f32 v[2:3], v[184:185], v[162:163], v[14:15] op_sel:[0,0,1] op_sel_hi:[1,1,0]
	v_pk_fma_f32 v[4:5], v[184:185], v[162:163], v[14:15] op_sel:[0,0,1] op_sel_hi:[1,1,0] neg_lo:[0,0,1] neg_hi:[0,0,1]
	v_accvgpr_read_b32 v16, a144
	v_mov_b32_e32 v3, v5
	v_accvgpr_read_b32 v17, a145
	v_pk_add_f32 v[2:3], v[156:157], v[2:3] neg_lo:[0,1] neg_hi:[0,1]
	v_pk_mul_f32 v[16:17], v[16:17], v[152:153]
	v_pk_fma_f32 v[4:5], v[156:157], 2.0, v[2:3] op_sel_hi:[1,0,1] neg_lo:[0,0,1] neg_hi:[0,0,1]
	v_accvgpr_read_b32 v6, a166
	ds_write2_b64 v6, v[4:5], v[2:3] offset1:28
	v_pk_fma_f32 v[2:3], v[218:219], v[152:153], v[16:17] op_sel:[0,0,1] op_sel_hi:[1,1,0]
	v_pk_fma_f32 v[4:5], v[218:219], v[152:153], v[16:17] op_sel:[0,0,1] op_sel_hi:[1,1,0] neg_lo:[0,0,1] neg_hi:[0,0,1]
	v_accvgpr_read_b32 v18, a142
	v_mov_b32_e32 v3, v5
	v_accvgpr_read_b32 v19, a143
	v_pk_add_f32 v[2:3], v[158:159], v[2:3] neg_lo:[0,1] neg_hi:[0,1]
	v_pk_mul_f32 v[18:19], v[18:19], v[154:155]
	v_pk_fma_f32 v[4:5], v[158:159], 2.0, v[2:3] op_sel_hi:[1,0,1] neg_lo:[0,0,1] neg_hi:[0,0,1]
	v_accvgpr_read_b32 v6, a167
	ds_write2_b64 v6, v[4:5], v[2:3] offset1:28
	v_pk_fma_f32 v[2:3], v[216:217], v[154:155], v[18:19] op_sel:[0,0,1] op_sel_hi:[1,1,0]
	v_pk_fma_f32 v[4:5], v[216:217], v[154:155], v[18:19] op_sel:[0,0,1] op_sel_hi:[1,1,0] neg_lo:[0,0,1] neg_hi:[0,0,1]
	v_accvgpr_read_b32 v20, a140
	v_mov_b32_e32 v3, v5
	v_accvgpr_read_b32 v21, a141
	v_pk_add_f32 v[2:3], v[148:149], v[2:3] neg_lo:[0,1] neg_hi:[0,1]
	v_pk_mul_f32 v[20:21], v[20:21], v[144:145]
	v_pk_fma_f32 v[4:5], v[148:149], 2.0, v[2:3] op_sel_hi:[1,0,1] neg_lo:[0,0,1] neg_hi:[0,0,1]
	v_accvgpr_read_b32 v6, a168
	ds_write2_b64 v6, v[4:5], v[2:3] offset1:28
	v_pk_fma_f32 v[2:3], v[214:215], v[144:145], v[20:21] op_sel:[0,0,1] op_sel_hi:[1,1,0]
	v_pk_fma_f32 v[4:5], v[214:215], v[144:145], v[20:21] op_sel:[0,0,1] op_sel_hi:[1,1,0] neg_lo:[0,0,1] neg_hi:[0,0,1]
	v_accvgpr_read_b32 v22, a154
	v_mov_b32_e32 v3, v5
	v_accvgpr_read_b32 v23, a155
	v_pk_add_f32 v[2:3], v[150:151], v[2:3] neg_lo:[0,1] neg_hi:[0,1]
	v_pk_mul_f32 v[22:23], v[22:23], v[146:147]
	v_pk_fma_f32 v[4:5], v[150:151], 2.0, v[2:3] op_sel_hi:[1,0,1] neg_lo:[0,0,1] neg_hi:[0,0,1]
	v_accvgpr_read_b32 v6, a170
	ds_write2_b64 v6, v[4:5], v[2:3] offset1:28
	v_pk_fma_f32 v[2:3], v[226:227], v[146:147], v[22:23] op_sel:[0,0,1] op_sel_hi:[1,1,0]
	v_pk_fma_f32 v[4:5], v[226:227], v[146:147], v[22:23] op_sel:[0,0,1] op_sel_hi:[1,1,0] neg_lo:[0,0,1] neg_hi:[0,0,1]
	v_accvgpr_read_b32 v24, a152
	v_mov_b32_e32 v3, v5
	v_accvgpr_read_b32 v25, a153
	v_pk_add_f32 v[2:3], v[140:141], v[2:3] neg_lo:[0,1] neg_hi:[0,1]
	v_pk_mul_f32 v[24:25], v[24:25], v[136:137]
	v_pk_fma_f32 v[4:5], v[140:141], 2.0, v[2:3] op_sel_hi:[1,0,1] neg_lo:[0,0,1] neg_hi:[0,0,1]
	v_accvgpr_read_b32 v6, a171
	ds_write2_b64 v6, v[4:5], v[2:3] offset1:28
	v_pk_fma_f32 v[2:3], v[224:225], v[136:137], v[24:25] op_sel:[0,0,1] op_sel_hi:[1,1,0]
	v_pk_fma_f32 v[4:5], v[224:225], v[136:137], v[24:25] op_sel:[0,0,1] op_sel_hi:[1,1,0] neg_lo:[0,0,1] neg_hi:[0,0,1]
	v_accvgpr_read_b32 v26, a150
	v_mov_b32_e32 v3, v5
	v_accvgpr_read_b32 v27, a151
	v_pk_add_f32 v[2:3], v[142:143], v[2:3] neg_lo:[0,1] neg_hi:[0,1]
	v_pk_mul_f32 v[26:27], v[26:27], v[138:139]
	v_pk_fma_f32 v[4:5], v[142:143], 2.0, v[2:3] op_sel_hi:[1,0,1] neg_lo:[0,0,1] neg_hi:[0,0,1]
	v_accvgpr_read_b32 v6, a172
	ds_write2_b64 v6, v[4:5], v[2:3] offset1:28
	v_pk_fma_f32 v[2:3], v[222:223], v[138:139], v[26:27] op_sel:[0,0,1] op_sel_hi:[1,1,0]
	v_pk_fma_f32 v[4:5], v[222:223], v[138:139], v[26:27] op_sel:[0,0,1] op_sel_hi:[1,1,0] neg_lo:[0,0,1] neg_hi:[0,0,1]
	v_accvgpr_read_b32 v30, a148
	v_mov_b32_e32 v3, v5
	v_accvgpr_read_b32 v31, a149
	v_pk_add_f32 v[2:3], v[132:133], v[2:3] neg_lo:[0,1] neg_hi:[0,1]
	v_pk_mul_f32 v[30:31], v[30:31], v[128:129]
	v_pk_fma_f32 v[4:5], v[132:133], 2.0, v[2:3] op_sel_hi:[1,0,1] neg_lo:[0,0,1] neg_hi:[0,0,1]
	v_accvgpr_read_b32 v6, a173
	ds_write2_b64 v6, v[4:5], v[2:3] offset1:28
	v_pk_fma_f32 v[2:3], v[220:221], v[128:129], v[30:31] op_sel:[0,0,1] op_sel_hi:[1,1,0]
	v_pk_fma_f32 v[4:5], v[220:221], v[128:129], v[30:31] op_sel:[0,0,1] op_sel_hi:[1,1,0] neg_lo:[0,0,1] neg_hi:[0,0,1]
	v_accvgpr_read_b32 v36, a162
	v_mov_b32_e32 v3, v5
	v_accvgpr_read_b32 v37, a163
	v_pk_add_f32 v[2:3], v[134:135], v[2:3] neg_lo:[0,1] neg_hi:[0,1]
	v_pk_mul_f32 v[36:37], v[36:37], v[130:131]
	v_pk_fma_f32 v[4:5], v[134:135], 2.0, v[2:3] op_sel_hi:[1,0,1] neg_lo:[0,0,1] neg_hi:[0,0,1]
	v_accvgpr_read_b32 v6, a174
	ds_write2_b64 v6, v[4:5], v[2:3] offset1:28
	v_pk_fma_f32 v[2:3], v[116:117], v[130:131], v[36:37] op_sel:[0,0,1] op_sel_hi:[1,1,0]
	v_pk_fma_f32 v[4:5], v[116:117], v[130:131], v[36:37] op_sel:[0,0,1] op_sel_hi:[1,1,0] neg_lo:[0,0,1] neg_hi:[0,0,1]
	v_accvgpr_read_b32 v38, a160
	v_mov_b32_e32 v3, v5
	v_accvgpr_read_b32 v39, a161
	v_pk_add_f32 v[2:3], v[124:125], v[2:3] neg_lo:[0,1] neg_hi:[0,1]
	v_pk_mul_f32 v[38:39], v[38:39], v[120:121]
	v_pk_fma_f32 v[4:5], v[124:125], 2.0, v[2:3] op_sel_hi:[1,0,1] neg_lo:[0,0,1] neg_hi:[0,0,1]
	v_accvgpr_read_b32 v6, a175
	ds_write2_b64 v6, v[4:5], v[2:3] offset1:28
	v_pk_fma_f32 v[2:3], v[52:53], v[120:121], v[38:39] op_sel:[0,0,1] op_sel_hi:[1,1,0]
	v_pk_fma_f32 v[4:5], v[52:53], v[120:121], v[38:39] op_sel:[0,0,1] op_sel_hi:[1,1,0] neg_lo:[0,0,1] neg_hi:[0,0,1]
	v_accvgpr_read_b32 v40, a158
	v_mov_b32_e32 v3, v5
	v_accvgpr_read_b32 v41, a159
	v_pk_add_f32 v[2:3], v[126:127], v[2:3] neg_lo:[0,1] neg_hi:[0,1]
	v_pk_mul_f32 v[40:41], v[40:41], v[122:123]
	v_pk_fma_f32 v[4:5], v[126:127], 2.0, v[2:3] op_sel_hi:[1,0,1] neg_lo:[0,0,1] neg_hi:[0,0,1]
	v_accvgpr_read_b32 v6, a176
	ds_write2_b64 v6, v[4:5], v[2:3] offset1:28
	v_pk_fma_f32 v[2:3], v[234:235], v[122:123], v[40:41] op_sel:[0,0,1] op_sel_hi:[1,1,0]
	v_pk_fma_f32 v[4:5], v[234:235], v[122:123], v[40:41] op_sel:[0,0,1] op_sel_hi:[1,1,0] neg_lo:[0,0,1] neg_hi:[0,0,1]
	v_accvgpr_read_b32 v6, a177
	v_mov_b32_e32 v3, v5
	v_pk_add_f32 v[2:3], v[48:49], v[2:3] neg_lo:[0,1] neg_hi:[0,1]
	v_pk_mul_f32 v[44:45], v[44:45], v[10:11]
	v_pk_fma_f32 v[4:5], v[48:49], 2.0, v[2:3] op_sel_hi:[1,0,1] neg_lo:[0,0,1] neg_hi:[0,0,1]
	ds_write2_b64 v6, v[4:5], v[2:3] offset1:28
	v_pk_fma_f32 v[2:3], v[232:233], v[8:9], v[42:43] op_sel:[0,0,1] op_sel_hi:[1,1,0]
	v_pk_fma_f32 v[4:5], v[232:233], v[8:9], v[42:43] op_sel:[0,0,1] op_sel_hi:[1,1,0] neg_lo:[0,0,1] neg_hi:[0,0,1]
	v_accvgpr_read_b32 v6, a178
	v_mov_b32_e32 v3, v5
	v_pk_add_f32 v[2:3], v[50:51], v[2:3] neg_lo:[0,1] neg_hi:[0,1]
	v_mov_b32_e32 v200, v104
	v_pk_fma_f32 v[4:5], v[50:51], 2.0, v[2:3] op_sel_hi:[1,0,1] neg_lo:[0,0,1] neg_hi:[0,0,1]
	ds_write2_b64 v6, v[4:5], v[2:3] offset1:28
	v_pk_fma_f32 v[2:3], v[28:29], v[10:11], v[44:45] op_sel:[0,0,1] op_sel_hi:[1,1,0]
	v_pk_fma_f32 v[4:5], v[28:29], v[10:11], v[44:45] op_sel:[0,0,1] op_sel_hi:[1,1,0] neg_lo:[0,0,1] neg_hi:[0,0,1]
	v_mov_b32_e32 v201, v104
	v_mov_b32_e32 v3, v5
	v_pk_add_f32 v[2:3], v[0:1], v[2:3] neg_lo:[0,1] neg_hi:[0,1]
	v_mov_b32_e32 v104, v105
	v_mov_b32_e32 v196, v106
	;; [unrolled: 1-line block ×70, first 2 shown]
	v_pk_fma_f32 v[0:1], v[0:1], 2.0, v[2:3] op_sel_hi:[1,0,1] neg_lo:[0,0,1] neg_hi:[0,0,1]
	v_accvgpr_read_b32 v4, a179
	ds_write2_b64 v4, v[0:1], v[2:3] offset1:28
	s_and_saveexec_b64 s[0:1], s[4:5]
	s_cbranch_execz .LBB0_23
; %bb.22:
	v_accvgpr_read_b32 v4, a124
	v_mov_b32_e32 v0, v119
	v_accvgpr_read_b32 v5, a125
	v_pk_mul_f32 v[0:1], v[4:5], v[0:1] op_sel_hi:[1,0]
	v_mov_b32_e32 v229, v231
	v_pk_fma_f32 v[2:3], v[4:5], v[118:119], v[0:1] op_sel:[0,0,1] op_sel_hi:[1,1,0]
	v_pk_fma_f32 v[0:1], v[4:5], v[118:119], v[0:1] op_sel:[0,0,1] op_sel_hi:[1,0,0] neg_lo:[1,0,0] neg_hi:[1,0,0]
	v_accvgpr_read_b32 v4, a85
	v_mov_b32_e32 v3, v1
	v_pk_add_f32 v[0:1], v[228:229], v[2:3] neg_lo:[0,1] neg_hi:[0,1]
	v_add_u32_e32 v4, 0x3800, v4
	v_pk_fma_f32 v[2:3], v[228:229], 2.0, v[0:1] op_sel_hi:[1,0,1] neg_lo:[0,0,1] neg_hi:[0,0,1]
	ds_write2_b64 v4, v[2:3], v[0:1] offset0:112 offset1:140
.LBB0_23:
	s_or_b64 exec, exec, s[0:1]
	v_add_u32_e32 v43, 0x1000, v182
	s_waitcnt lgkmcnt(0)
	; wave barrier
	s_waitcnt lgkmcnt(0)
	ds_read2_b64 v[0:3], v43 offset0:48 offset1:104
	v_add_u32_e32 v142, 0x1800, v182
	ds_read2_b64 v[124:127], v142 offset0:128 offset1:184
	ds_read2_b64 v[116:119], v142 offset0:16 offset1:72
	v_add_u32_e32 v144, 0x800, v182
	s_waitcnt lgkmcnt(2)
	v_mul_f32_e32 v141, v59, v3
	v_mov_b32_e32 v4, v1
	v_pk_mul_f32 v[6:7], v[58:59], v[0:1] op_sel_hi:[1,0]
	ds_read2_b64 v[132:135], v144 offset0:80 offset1:136
	v_fmac_f32_e32 v141, v58, v2
	v_pk_fma_f32 v[8:9], v[58:59], v[4:5], v[6:7] op_sel:[0,0,1] op_sel_hi:[1,1,0] neg_lo:[0,0,1] neg_hi:[0,0,1]
	v_pk_fma_f32 v[0:1], v[58:59], v[0:1], v[6:7] op_sel:[0,1,1] op_sel_hi:[1,1,0]
	v_mov_b32_e32 v5, v2
	v_mov_b32_e32 v7, v58
	;; [unrolled: 1-line block ×3, first 2 shown]
	s_waitcnt lgkmcnt(2)
	v_mov_b32_e32 v4, v125
	v_add_u32_e32 v143, 0x2800, v182
	v_mov_b32_e32 v6, v108
	v_mov_b32_e32 v2, v124
	v_pk_mul_f32 v[4:5], v[58:59], v[4:5]
	ds_read2_b64 v[120:123], v143 offset0:64 offset1:120
	v_pk_fma_f32 v[22:23], v[6:7], v[2:3], v[4:5] neg_lo:[0,0,1] neg_hi:[0,0,1]
	s_waitcnt lgkmcnt(2)
	v_pk_mul_f32 v[2:3], v[108:109], v[118:119] op_sel:[0,1] op_sel_hi:[1,0]
	v_pk_fma_f32 v[20:21], v[108:109], v[124:125], v[4:5]
	v_mov_b32_e32 v0, v3
	v_pk_fma_f32 v[6:7], v[108:109], v[118:119], v[0:1] op_sel:[0,1,0] op_sel_hi:[1,0,1] neg_lo:[0,0,1] neg_hi:[0,0,1]
	v_pk_mul_f32 v[10:11], v[108:109], v[118:119]
	v_mov_b32_e32 v108, v57
	s_waitcnt lgkmcnt(1)
	v_mov_b32_e32 v4, v133
	v_mov_b32_e32 v5, v124
	v_accvgpr_read_b32 v14, a132
	v_mov_b32_e32 v2, v132
	v_mov_b32_e32 v3, v125
	v_pk_mul_f32 v[4:5], v[108:109], v[4:5]
	v_accvgpr_read_b32 v15, a133
	v_pk_fma_f32 v[12:13], v[14:15], v[2:3], v[4:5]
	v_pk_fma_f32 v[14:15], v[14:15], v[2:3], v[4:5] neg_lo:[0,0,1] neg_hi:[0,0,1]
	ds_read2_b64 v[136:139], v143 offset0:176 offset1:232
	s_waitcnt lgkmcnt(1)
	v_mov_b32_e32 v0, v123
	v_pk_mul_f32 v[2:3], v[112:113], v[122:123] op_sel_hi:[1,0]
	v_add_u32_e32 v145, 0x2000, v182
	v_pk_fma_f32 v[18:19], v[112:113], v[0:1], v[2:3] op_sel:[0,0,1] op_sel_hi:[1,1,0] neg_lo:[0,0,1] neg_hi:[0,0,1]
	v_pk_fma_f32 v[24:25], v[112:113], v[122:123], v[2:3] op_sel:[0,1,1] op_sel_hi:[1,1,0]
	ds_read2_b64 v[2:5], v145 offset0:96 offset1:152
	s_waitcnt lgkmcnt(1)
	v_mul_f32_e32 v17, v113, v137
	v_fmac_f32_e32 v17, v112, v136
	v_mov_b32_e32 v27, v112
	v_mov_b32_e32 v112, v111
	s_waitcnt lgkmcnt(0)
	v_mov_b32_e32 v30, v5
	v_mov_b32_e32 v31, v136
	;; [unrolled: 1-line block ×5, first 2 shown]
	v_pk_mul_f32 v[36:37], v[112:113], v[30:31]
	v_add_u32_e32 v136, 0x3000, v182
	v_pk_fma_f32 v[26:27], v[26:27], v[28:29], v[36:37] neg_lo:[0,0,1] neg_hi:[0,0,1]
	v_pk_mul_f32 v[28:29], v[110:111], v[2:3] op_sel:[0,1] op_sel_hi:[1,0]
	v_pk_fma_f32 v[36:37], v[110:111], v[4:5], v[36:37]
	v_mov_b32_e32 v0, v29
	ds_read2_b64 v[28:31], v136 offset0:144 offset1:200
	v_pk_fma_f32 v[38:39], v[110:111], v[2:3], v[0:1] op_sel:[0,1,0] op_sel_hi:[1,0,1] neg_lo:[0,0,1] neg_hi:[0,0,1]
	v_mov_b32_e32 v47, v4
	v_accvgpr_read_b32 v48, a180
	v_accvgpr_read_b32 v49, a181
	s_waitcnt lgkmcnt(0)
	v_mov_b32_e32 v0, v29
	v_pk_mul_f32 v[40:41], v[114:115], v[28:29] op_sel_hi:[1,0]
	v_mov_b32_e32 v46, v31
	v_pk_fma_f32 v[44:45], v[114:115], v[0:1], v[40:41] op_sel:[0,0,1] op_sel_hi:[1,1,0] neg_lo:[0,0,1] neg_hi:[0,0,1]
	v_pk_fma_f32 v[28:29], v[114:115], v[28:29], v[40:41] op_sel:[0,1,1] op_sel_hi:[1,1,0]
	v_pk_mul_f32 v[40:41], v[110:111], v[2:3]
	v_mov_b32_e32 v110, v115
	v_mul_f32_e32 v0, v115, v30
	v_fma_f32 v24, v114, v31, -v0
	v_mov_b32_e32 v31, v5
	v_pk_mul_f32 v[4:5], v[110:111], v[46:47]
	v_add_u32_e32 v137, 0x400, v182
	v_pk_fma_f32 v[46:47], v[48:49], v[30:31], v[4:5]
	v_pk_fma_f32 v[30:31], v[48:49], v[30:31], v[4:5] neg_lo:[0,0,1] neg_hi:[0,0,1]
	ds_read2_b64 v[48:51], v137 offset0:96 offset1:152
	v_mov_b32_e32 v0, v111
	v_pk_mul_f32 v[2:3], v[0:1], v[2:3] op_sel:[0,1] op_sel_hi:[1,0]
	v_mov_b32_e32 v0, v109
	v_mov_b32_e32 v9, v1
	s_waitcnt lgkmcnt(0)
	v_mov_b32_e32 v4, v51
	v_pk_mul_f32 v[52:53], v[56:57], v[50:51] op_sel_hi:[1,0]
	v_pk_mul_f32 v[0:1], v[0:1], v[118:119] op_sel:[0,1] op_sel_hi:[1,0]
	v_pk_fma_f32 v[4:5], v[56:57], v[4:5], v[52:53] op_sel:[0,0,1] op_sel_hi:[1,1,0] neg_lo:[0,0,1] neg_hi:[0,0,1]
	v_pk_fma_f32 v[50:51], v[56:57], v[50:51], v[52:53] op_sel:[0,1,1] op_sel_hi:[1,1,0]
	v_mov_b32_e32 v19, v25
	v_mov_b32_e32 v5, v51
	;; [unrolled: 1-line block ×7, first 2 shown]
	v_pk_add_f32 v[28:29], v[4:5], v[44:45]
	v_pk_add_f32 v[54:55], v[4:5], v[44:45] neg_lo:[0,1] neg_hi:[0,1]
	v_pk_add_f32 v[40:41], v[40:41], v[2:3]
	v_pk_add_f32 v[44:45], v[8:9], v[18:19]
	v_pk_add_f32 v[148:149], v[8:9], v[18:19] neg_lo:[0,1] neg_hi:[0,1]
	v_pk_add_f32 v[18:19], v[10:11], v[0:1]
	v_mov_b32_e32 v39, v40
	v_mov_b32_e32 v7, v18
	v_pk_add_f32 v[0:1], v[38:39], v[6:7] neg_lo:[0,1] neg_hi:[0,1]
	v_mov_b32_e32 v3, v55
	v_mov_b32_e32 v2, v0
	v_mov_b32_e32 v4, v148
	v_mov_b32_e32 v5, v1
	v_pk_add_f32 v[2:3], v[2:3], v[4:5] neg_lo:[0,1] neg_hi:[0,1]
	v_mov_b32_e32 v4, v54
	v_mov_b32_e32 v8, v0
	;; [unrolled: 1-line block ×3, first 2 shown]
	v_pk_add_f32 v[150:151], v[4:5], v[8:9] neg_lo:[0,1] neg_hi:[0,1]
	v_mov_b32_e32 v5, v6
	v_mov_b32_e32 v4, v45
	v_mov_b32_e32 v7, v38
	v_mov_b32_e32 v6, v29
	s_mov_b32 s22, 0x3f08b237
	v_pk_add_f32 v[0:1], v[0:1], v[148:149]
	v_pk_add_f32 v[4:5], v[4:5], v[6:7]
	s_mov_b32 s23, 0xbeae86e6
	v_pk_add_f32 v[38:39], v[0:1], v[54:55]
	v_pk_add_f32 v[0:1], v[18:19], v[40:41]
	v_pk_mul_f32 v[6:7], v[2:3], s[22:23]
	v_mov_b32_e32 v40, v0
	v_mov_b32_e32 v2, v45
	;; [unrolled: 1-line block ×3, first 2 shown]
	s_mov_b32 s20, 0x3d64c772
	v_pk_add_f32 v[2:3], v[40:41], v[2:3] neg_lo:[0,1] neg_hi:[0,1]
	v_mov_b32_e32 v18, v0
	v_pk_add_f32 v[0:1], v[4:5], v[0:1]
	v_mov_b32_e32 v4, v29
	s_mov_b32 s21, 0x3f4a47b2
	v_pk_add_f32 v[152:153], v[4:5], v[18:19] neg_lo:[0,1] neg_hi:[0,1]
	v_pk_mul_f32 v[154:155], v[2:3], s[20:21]
	ds_read2_b64 v[2:5], v182 offset1:56
	s_mov_b32 s2, s23
	s_mov_b32 s3, s22
	s_mov_b32 s4, s21
	s_mov_b32 s5, s20
	v_mov_b32_e32 v18, v45
	v_mov_b32_e32 v40, v29
	s_mov_b32 s18, 0x3f955555
	s_waitcnt lgkmcnt(0)
	v_pk_add_f32 v[156:157], v[2:3], v[0:1]
	v_pk_add_f32 v[18:19], v[18:19], v[40:41] neg_lo:[0,1] neg_hi:[0,1]
	v_pk_mul_f32 v[28:29], v[150:151], s[2:3]
	v_pk_mul_f32 v[40:41], v[152:153], s[4:5]
	v_pk_fma_f32 v[158:159], v[0:1], s[18:19], v[156:157] op_sel_hi:[1,0,1] neg_lo:[1,0,0] neg_hi:[1,0,0]
	v_pk_fma_f32 v[0:1], v[152:153], s[4:5], v[154:155]
	v_pk_fma_f32 v[2:3], v[150:151], s[2:3], v[6:7]
	v_pk_add_f32 v[54:55], v[148:149], v[54:55] neg_lo:[0,1] neg_hi:[0,1]
	s_mov_b32 s14, 0xbf5ff5aa
	s_mov_b32 s16, 0x3f3bfb3b
	v_mov_b32_e32 v44, v40
	v_mov_b32_e32 v45, v155
	;; [unrolled: 1-line block ×6, first 2 shown]
	s_mov_b32 s0, 0xbee1c552
	v_pk_fma_f32 v[44:45], v[18:19], s[16:17], v[44:45] op_sel_hi:[1,0,1] neg_lo:[1,0,1] neg_hi:[1,0,1]
	v_pk_fma_f32 v[148:149], v[54:55], s[14:15], v[148:149] op_sel_hi:[1,0,1] neg_lo:[1,0,1] neg_hi:[1,0,1]
	;; [unrolled: 1-line block ×4, first 2 shown]
	v_pk_add_f32 v[0:1], v[0:1], v[158:159]
	v_pk_fma_f32 v[2:3], v[38:39], s[0:1], v[2:3] op_sel_hi:[1,0,1]
	v_pk_add_f32 v[44:45], v[44:45], v[158:159]
	v_pk_fma_f32 v[148:149], v[38:39], s[0:1], v[148:149] op_sel_hi:[1,0,1]
	;; [unrolled: 2-line block ×3, first 2 shown]
	v_pk_add_f32 v[160:161], v[0:1], v[2:3]
	v_pk_add_f32 v[162:163], v[0:1], v[2:3] neg_lo:[0,1] neg_hi:[0,1]
	v_pk_add_f32 v[150:151], v[44:45], v[148:149]
	v_pk_add_f32 v[44:45], v[44:45], v[148:149] neg_lo:[0,1] neg_hi:[0,1]
	v_pk_add_f32 v[28:29], v[18:19], v[6:7] neg_lo:[0,1] neg_hi:[0,1]
	v_pk_add_f32 v[6:7], v[18:19], v[6:7]
	v_mov_b32_e32 v164, v160
	v_mov_b32_e32 v165, v163
	;; [unrolled: 1-line block ×6, first 2 shown]
	v_add_u32_e32 v118, 0x3800, v182
	v_add_u32_e32 v119, 0x1c00, v182
	;; [unrolled: 1-line block ×3, first 2 shown]
	ds_read_b64 v[58:59], v182 offset:15232
	ds_read2_b64 v[128:131], v43 offset0:160 offset1:216
	ds_read2_b64 v[8:11], v118 offset1:56
	ds_read2_b64 v[122:125], v144 offset0:192 offset1:248
	ds_read2_b64 v[50:53], v136 offset0:32 offset1:88
	;; [unrolled: 1-line block ×5, first 2 shown]
	s_waitcnt lgkmcnt(0)
	; wave barrier
	s_waitcnt lgkmcnt(0)
	ds_write2_b64 v182, v[156:157], v[164:165] offset1:56
	ds_write2_b64 v137, v[6:7], v[44:45] offset0:96 offset1:152
	v_mul_f32_e32 v6, v57, v132
	v_mov_b32_e32 v18, v150
	v_mov_b32_e32 v38, v28
	v_fma_f32 v6, v56, v133, -v6
	v_mov_b32_e32 v7, v12
	v_mov_b32_e32 v25, v46
	;; [unrolled: 1-line block ×6, first 2 shown]
	ds_write2_b64 v182, v[18:19], v[38:39] offset0:112 offset1:168
	v_add_f32_e32 v19, v6, v24
	v_pk_add_f32 v[6:7], v[6:7], v[24:25] neg_lo:[0,1] neg_hi:[0,1]
	v_mov_b32_e32 v140, v23
	v_mov_b32_e32 v16, v27
	v_add_f32_e32 v14, v141, v17
	v_pk_add_f32 v[12:13], v[12:13], v[46:47]
	v_mov_b32_e32 v22, v31
	v_mov_b32_e32 v23, v36
	v_pk_add_f32 v[24:25], v[20:21], v[36:37]
	v_mov_b32_e32 v26, v15
	v_mov_b32_e32 v27, v20
	v_pk_add_f32 v[16:17], v[140:141], v[16:17] neg_lo:[0,1] neg_hi:[0,1]
	v_pk_add_f32 v[20:21], v[22:23], v[26:27] neg_lo:[0,1] neg_hi:[0,1]
	v_mov_b32_e32 v22, v24
	v_mov_b32_e32 v23, v19
	;; [unrolled: 1-line block ×4, first 2 shown]
	v_pk_add_f32 v[22:23], v[22:23], v[26:27] neg_lo:[0,1] neg_hi:[0,1]
	v_mov_b32_e32 v26, v20
	v_mov_b32_e32 v27, v7
	;; [unrolled: 1-line block ×4, first 2 shown]
	v_pk_add_f32 v[26:27], v[26:27], v[28:29] neg_lo:[0,1] neg_hi:[0,1]
	v_mov_b32_e32 v28, v6
	v_pk_add_f32 v[30:31], v[20:21], v[16:17]
	v_mov_b32_e32 v21, v17
	v_mov_b32_e32 v15, v25
	;; [unrolled: 1-line block ×3, first 2 shown]
	v_pk_add_f32 v[20:21], v[28:29], v[20:21] neg_lo:[0,1] neg_hi:[0,1]
	v_pk_add_f32 v[28:29], v[12:13], v[24:25] neg_lo:[0,1] neg_hi:[0,1]
	v_mov_b32_e32 v25, v13
	v_pk_add_f32 v[12:13], v[14:15], v[18:19]
	v_mov_b32_e32 v163, v161
	v_pk_add_f32 v[12:13], v[24:25], v[12:13]
	v_pk_mul_f32 v[22:23], v[22:23], s[20:21]
	v_pk_add_f32 v[4:5], v[4:5], v[12:13]
	ds_write2_b64 v144, v[162:163], v[4:5] offset0:80 offset1:136
	v_pk_fma_f32 v[4:5], v[12:13], s[18:19], v[4:5] op_sel_hi:[1,0,1] neg_lo:[1,0,0] neg_hi:[1,0,0]
	v_pk_add_f32 v[12:13], v[30:31], v[6:7]
	v_pk_mul_f32 v[24:25], v[26:27], s[22:23]
	v_pk_add_f32 v[14:15], v[14:15], v[18:19] neg_lo:[0,1] neg_hi:[0,1]
	v_pk_add_f32 v[6:7], v[16:17], v[6:7] neg_lo:[0,1] neg_hi:[0,1]
	v_pk_mul_f32 v[16:17], v[28:29], s[4:5]
	v_pk_mul_f32 v[18:19], v[20:21], s[2:3]
	v_pk_fma_f32 v[26:27], v[28:29], s[4:5], v[22:23]
	v_pk_fma_f32 v[30:31], v[20:21], s[2:3], v[24:25]
	v_mov_b32_e32 v20, v16
	v_mov_b32_e32 v21, v23
	;; [unrolled: 1-line block ×6, first 2 shown]
	v_pk_fma_f32 v[20:21], v[14:15], s[16:17], v[20:21] op_sel_hi:[1,0,1] neg_lo:[1,0,1] neg_hi:[1,0,1]
	v_pk_fma_f32 v[28:29], v[6:7], s[14:15], v[28:29] op_sel_hi:[1,0,1] neg_lo:[1,0,1] neg_hi:[1,0,1]
	;; [unrolled: 1-line block ×4, first 2 shown]
	v_pk_add_f32 v[26:27], v[26:27], v[4:5]
	v_pk_add_f32 v[20:21], v[20:21], v[4:5]
	;; [unrolled: 1-line block ×3, first 2 shown]
	v_pk_fma_f32 v[6:7], v[12:13], s[0:1], v[6:7] op_sel_hi:[1,0,1]
	v_pk_fma_f32 v[30:31], v[12:13], s[0:1], v[30:31] op_sel_hi:[1,0,1]
	;; [unrolled: 1-line block ×3, first 2 shown]
	v_pk_add_f32 v[12:13], v[4:5], v[6:7]
	v_pk_add_f32 v[4:5], v[4:5], v[6:7] neg_lo:[0,1] neg_hi:[0,1]
	v_accvgpr_read_b32 v14, a110
	v_mov_b32_e32 v6, v4
	v_mov_b32_e32 v7, v13
	;; [unrolled: 1-line block ×3, first 2 shown]
	v_accvgpr_read_b32 v15, a111
	ds_write2_b64 v43, v[6:7], v[12:13] offset0:48 offset1:104
	v_mov_b32_e32 v4, v135
	v_accvgpr_read_b32 v16, a112
	v_accvgpr_read_b32 v17, a113
	v_pk_mul_f32 v[6:7], v[14:15], v[134:135] op_sel_hi:[1,0]
	v_accvgpr_read_b32 v22, a102
	v_pk_add_f32 v[36:37], v[26:27], v[30:31] neg_lo:[0,1] neg_hi:[0,1]
	v_pk_add_f32 v[26:27], v[26:27], v[30:31]
	v_pk_add_f32 v[30:31], v[20:21], v[28:29] neg_lo:[0,1] neg_hi:[0,1]
	v_pk_add_f32 v[20:21], v[20:21], v[28:29]
	v_pk_fma_f32 v[12:13], v[14:15], v[134:135], v[6:7] op_sel:[0,1,1] op_sel_hi:[1,1,0]
	v_pk_fma_f32 v[4:5], v[14:15], v[4:5], v[6:7] op_sel:[0,0,1] op_sel_hi:[1,1,0] neg_lo:[0,0,1] neg_hi:[0,0,1]
	v_mov_b32_e32 v6, v129
	v_pk_mul_f32 v[14:15], v[16:17], v[128:129] op_sel_hi:[1,0]
	v_accvgpr_read_b32 v23, a103
	v_accvgpr_read_b32 v24, a104
	;; [unrolled: 1-line block ×3, first 2 shown]
	v_mov_b32_e32 v38, v20
	v_mov_b32_e32 v39, v31
	;; [unrolled: 1-line block ×3, first 2 shown]
	v_pk_fma_f32 v[6:7], v[16:17], v[6:7], v[14:15] op_sel:[0,0,1] op_sel_hi:[1,1,0] neg_lo:[0,0,1] neg_hi:[0,0,1]
	v_pk_fma_f32 v[14:15], v[16:17], v[128:129], v[14:15] op_sel:[0,1,1] op_sel_hi:[1,1,0]
	v_mov_b32_e32 v12, v139
	v_pk_mul_f32 v[16:17], v[22:23], v[138:139] op_sel_hi:[1,0]
	v_pk_mul_f32 v[20:21], v[24:25], v[8:9] op_sel_hi:[1,0]
	v_pk_fma_f32 v[18:19], v[22:23], v[138:139], v[16:17] op_sel:[0,1,1] op_sel_hi:[1,1,0]
	v_pk_fma_f32 v[16:17], v[22:23], v[12:13], v[16:17] op_sel:[0,0,1] op_sel_hi:[1,1,0] neg_lo:[0,0,1] neg_hi:[0,0,1]
	v_mov_b32_e32 v12, v9
	v_pk_fma_f32 v[8:9], v[24:25], v[8:9], v[20:21] op_sel:[0,1,1] op_sel_hi:[1,1,0]
	v_mov_b32_e32 v28, v26
	v_mov_b32_e32 v29, v37
	v_pk_fma_f32 v[22:23], v[24:25], v[12:13], v[20:21] op_sel:[0,0,1] op_sel_hi:[1,1,0] neg_lo:[0,0,1] neg_hi:[0,0,1]
	v_mov_b32_e32 v8, v33
	v_pk_mul_f32 v[24:25], v[32:33], v[126:127] op_sel:[0,1] op_sel_hi:[1,0]
	ds_write2_b64 v144, v[28:29], v[38:39] offset0:192 offset1:248
	v_pk_mul_f32 v[20:21], v[8:9], v[126:127] op_sel:[0,1] op_sel_hi:[1,0]
	v_mov_b32_e32 v8, v25
	v_pk_mul_f32 v[28:29], v[34:35], v[112:113] op_sel:[0,1] op_sel_hi:[1,0]
	v_pk_fma_f32 v[24:25], v[32:33], v[126:127], v[8:9] op_sel:[0,1,0] op_sel_hi:[1,0,1] neg_lo:[0,0,1] neg_hi:[0,0,1]
	v_mov_b32_e32 v8, v29
	v_mov_b32_e32 v37, v27
	v_pk_fma_f32 v[28:29], v[34:35], v[112:113], v[8:9] op_sel:[0,1,0] op_sel_hi:[1,0,1] neg_lo:[0,0,1] neg_hi:[0,0,1]
	v_mov_b32_e32 v8, v35
	ds_write2_b64 v43, v[30:31], v[36:37] offset0:160 offset1:216
	v_pk_mul_f32 v[26:27], v[32:33], v[126:127]
	v_pk_mul_f32 v[30:31], v[34:35], v[112:113]
	v_mov_b32_e32 v23, v9
	v_pk_mul_f32 v[8:9], v[8:9], v[112:113] op_sel:[0,1] op_sel_hi:[1,0]
	v_mov_b32_e32 v7, v15
	v_mov_b32_e32 v17, v19
	;; [unrolled: 1-line block ×6, first 2 shown]
	v_pk_add_f32 v[14:15], v[30:31], v[8:9]
	v_pk_add_f32 v[18:19], v[6:7], v[16:17]
	v_pk_add_f32 v[6:7], v[6:7], v[16:17] neg_lo:[0,1] neg_hi:[0,1]
	v_pk_add_f32 v[16:17], v[26:27], v[20:21]
	v_mov_b32_e32 v5, v13
	v_mov_b32_e32 v29, v14
	;; [unrolled: 1-line block ×3, first 2 shown]
	v_pk_add_f32 v[12:13], v[4:5], v[22:23]
	v_pk_add_f32 v[4:5], v[4:5], v[22:23] neg_lo:[0,1] neg_hi:[0,1]
	v_pk_add_f32 v[8:9], v[28:29], v[24:25] neg_lo:[0,1] neg_hi:[0,1]
	v_mov_b32_e32 v21, v5
	v_mov_b32_e32 v20, v8
	;; [unrolled: 1-line block ×4, first 2 shown]
	v_pk_add_f32 v[20:21], v[20:21], v[22:23] neg_lo:[0,1] neg_hi:[0,1]
	v_mov_b32_e32 v22, v4
	v_mov_b32_e32 v26, v8
	;; [unrolled: 1-line block ×3, first 2 shown]
	v_pk_add_f32 v[22:23], v[22:23], v[26:27] neg_lo:[0,1] neg_hi:[0,1]
	v_mov_b32_e32 v25, v24
	v_mov_b32_e32 v24, v19
	;; [unrolled: 1-line block ×4, first 2 shown]
	v_pk_add_f32 v[8:9], v[8:9], v[6:7]
	v_pk_add_f32 v[24:25], v[24:25], v[26:27]
	;; [unrolled: 1-line block ×4, first 2 shown]
	v_mov_b32_e32 v28, v19
	v_mov_b32_e32 v14, v8
	;; [unrolled: 1-line block ×4, first 2 shown]
	v_pk_add_f32 v[8:9], v[24:25], v[8:9]
	v_mov_b32_e32 v24, v13
	v_pk_add_f32 v[28:29], v[14:15], v[28:29] neg_lo:[0,1] neg_hi:[0,1]
	v_pk_add_f32 v[24:25], v[24:25], v[16:17] neg_lo:[0,1] neg_hi:[0,1]
	v_mov_b32_e32 v16, v19
	v_mov_b32_e32 v14, v13
	v_pk_mul_f32 v[20:21], v[20:21], s[22:23]
	v_pk_mul_f32 v[28:29], v[28:29], s[20:21]
	v_pk_add_f32 v[30:31], v[0:1], v[8:9]
	v_pk_add_f32 v[4:5], v[6:7], v[4:5] neg_lo:[0,1] neg_hi:[0,1]
	v_pk_add_f32 v[6:7], v[16:17], v[14:15] neg_lo:[0,1] neg_hi:[0,1]
	v_pk_mul_f32 v[12:13], v[22:23], s[2:3]
	v_pk_mul_f32 v[14:15], v[24:25], s[4:5]
	v_pk_fma_f32 v[32:33], v[8:9], s[18:19], v[30:31] op_sel_hi:[1,0,1] neg_lo:[1,0,0] neg_hi:[1,0,0]
	v_pk_fma_f32 v[0:1], v[24:25], s[4:5], v[28:29]
	v_pk_fma_f32 v[8:9], v[22:23], s[2:3], v[20:21]
	v_mov_b32_e32 v16, v14
	v_mov_b32_e32 v17, v29
	;; [unrolled: 1-line block ×6, first 2 shown]
	v_pk_fma_f32 v[16:17], v[6:7], s[16:17], v[16:17] op_sel_hi:[1,0,1] neg_lo:[1,0,1] neg_hi:[1,0,1]
	v_pk_fma_f32 v[18:19], v[4:5], s[14:15], v[18:19] op_sel_hi:[1,0,1] neg_lo:[1,0,1] neg_hi:[1,0,1]
	;; [unrolled: 1-line block ×4, first 2 shown]
	v_pk_add_f32 v[0:1], v[0:1], v[32:33]
	v_pk_fma_f32 v[34:35], v[26:27], s[0:1], v[8:9] op_sel_hi:[1,0,1]
	v_pk_add_f32 v[16:17], v[16:17], v[32:33]
	v_pk_fma_f32 v[18:19], v[26:27], s[0:1], v[18:19] op_sel_hi:[1,0,1]
	;; [unrolled: 2-line block ×3, first 2 shown]
	v_pk_add_f32 v[8:9], v[0:1], v[34:35]
	v_pk_add_f32 v[0:1], v[0:1], v[34:35] neg_lo:[0,1] neg_hi:[0,1]
	v_accvgpr_read_b32 v42, a71
	v_pk_add_f32 v[22:23], v[16:17], v[18:19]
	v_pk_add_f32 v[16:17], v[16:17], v[18:19] neg_lo:[0,1] neg_hi:[0,1]
	v_pk_add_f32 v[12:13], v[6:7], v[4:5] neg_lo:[0,1] neg_hi:[0,1]
	v_pk_add_f32 v[4:5], v[6:7], v[4:5]
	v_mov_b32_e32 v34, v8
	v_mov_b32_e32 v35, v1
	v_add_u32_e32 v1, 0x1800, v42
	v_mov_b32_e32 v6, v22
	v_mov_b32_e32 v7, v17
	;; [unrolled: 1-line block ×4, first 2 shown]
	ds_write2_b64 v1, v[30:31], v[34:35] offset0:16 offset1:72
	ds_write2_b64 v1, v[6:7], v[14:15] offset0:128 offset1:184
	v_mov_b32_e32 v5, v13
	v_mov_b32_e32 v17, v23
	v_add_u32_e32 v1, 0x1c00, v42
	ds_write2_b64 v1, v[4:5], v[16:17] offset0:112 offset1:168
	v_accvgpr_read_b32 v16, a90
	v_accvgpr_read_b32 v18, a92
	;; [unrolled: 1-line block ×4, first 2 shown]
	v_mov_b32_e32 v4, v131
	v_accvgpr_read_b32 v17, a91
	v_pk_mul_f32 v[6:7], v[18:19], v[130:131] op_sel_hi:[1,0]
	v_accvgpr_read_b32 v21, a95
	v_pk_fma_f32 v[14:15], v[18:19], v[130:131], v[6:7] op_sel:[0,1,1] op_sel_hi:[1,1,0]
	v_pk_fma_f32 v[44:45], v[18:19], v[4:5], v[6:7] op_sel:[0,0,1] op_sel_hi:[1,1,0] neg_lo:[0,0,1] neg_hi:[0,0,1]
	v_mov_b32_e32 v4, v123
	v_pk_mul_f32 v[6:7], v[16:17], v[122:123] op_sel_hi:[1,0]
	v_pk_mul_f32 v[12:13], v[20:21], v[124:125] op_sel:[0,1] op_sel_hi:[1,0]
	v_accvgpr_read_b32 v18, a80
	v_pk_fma_f32 v[46:47], v[16:17], v[4:5], v[6:7] op_sel:[0,0,1] op_sel_hi:[1,1,0] neg_lo:[0,0,1] neg_hi:[0,0,1]
	v_pk_fma_f32 v[4:5], v[16:17], v[122:123], v[6:7] op_sel:[0,1,1] op_sel_hi:[1,1,0]
	v_accvgpr_read_b32 v20, a82
	v_accvgpr_read_b32 v21, a83
	;; [unrolled: 1-line block ×4, first 2 shown]
	v_mov_b32_e32 v4, v21
	v_pk_mul_f32 v[16:17], v[20:21], v[114:115] op_sel:[0,1] op_sel_hi:[1,0]
	v_mov_b32_e32 v6, v125
	v_mov_b32_e32 v7, v110
	v_accvgpr_read_b32 v29, a87
	v_accvgpr_read_b32 v24, a100
	v_pk_mul_f32 v[112:113], v[4:5], v[114:115] op_sel:[0,1] op_sel_hi:[1,0]
	v_mov_b32_e32 v4, v17
	v_pk_mul_f32 v[16:17], v[18:19], v[108:109] op_sel:[0,1] op_sel_hi:[1,0]
	v_mov_b32_e32 v125, v111
	v_pk_mul_f32 v[6:7], v[28:29], v[6:7]
	v_accvgpr_read_b32 v25, a101
	v_pk_fma_f32 v[36:37], v[20:21], v[114:115], v[4:5] op_sel:[0,1,0] op_sel_hi:[1,0,1] neg_lo:[0,0,1] neg_hi:[0,0,1]
	v_mov_b32_e32 v4, v17
	v_accvgpr_read_b32 v28, a118
	v_accvgpr_read_b32 v22, a96
	;; [unrolled: 1-line block ×3, first 2 shown]
	v_pk_fma_f32 v[26:27], v[24:25], v[124:125], v[6:7]
	v_pk_fma_f32 v[6:7], v[24:25], v[124:125], v[6:7] neg_lo:[0,0,1] neg_hi:[0,0,1]
	v_pk_fma_f32 v[38:39], v[18:19], v[108:109], v[4:5] op_sel:[0,1,0] op_sel_hi:[1,0,1] neg_lo:[0,0,1] neg_hi:[0,0,1]
	v_pk_mul_f32 v[56:57], v[18:19], v[108:109]
	v_mov_b32_e32 v4, v19
	v_mov_b32_e32 v18, v111
	;; [unrolled: 1-line block ×3, first 2 shown]
	v_accvgpr_read_b32 v29, a119
	v_accvgpr_read_b32 v125, a79
	;; [unrolled: 1-line block ×3, first 2 shown]
	v_pk_mul_f32 v[114:115], v[20:21], v[114:115]
	v_mov_b32_e32 v16, v110
	v_mov_b32_e32 v17, v117
	v_pk_mul_f32 v[20:21], v[22:23], v[116:117]
	v_mov_b32_e32 v23, v22
	v_pk_mul_f32 v[18:19], v[28:29], v[18:19]
	v_mov_b32_e32 v22, v25
	v_accvgpr_read_b32 v124, a78
	v_mov_b32_e32 v34, v120
	v_mov_b32_e32 v35, v52
	v_accvgpr_read_b32 v41, a121
	v_accvgpr_read_b32 v54, a98
	;; [unrolled: 1-line block ×3, first 2 shown]
	v_pk_mul_f32 v[108:109], v[4:5], v[108:109] op_sel:[0,1] op_sel_hi:[1,0]
	v_mov_b32_e32 v4, v25
	v_pk_fma_f32 v[24:25], v[22:23], v[16:17], v[18:19] neg_lo:[0,0,1] neg_hi:[0,0,1]
	v_accvgpr_read_b32 v122, a76
	v_pk_mul_f32 v[22:23], v[124:125], v[58:59] op_sel:[0,1] op_sel_hi:[1,0]
	v_mov_b32_e32 v32, v121
	v_pk_mul_f32 v[34:35], v[40:41], v[34:35]
	v_mov_b32_e32 v33, v53
	v_accvgpr_read_b32 v55, a99
	v_accvgpr_read_b32 v123, a77
	v_mov_b32_e32 v125, v30
	v_accvgpr_read_b32 v6, a70
	v_mov_b32_e32 v30, v59
	v_mov_b32_e32 v31, v120
	v_pk_fma_f32 v[40:41], v[54:55], v[32:33], v[34:35]
	v_pk_fma_f32 v[32:33], v[54:55], v[32:33], v[34:35] neg_lo:[0,0,1] neg_hi:[0,0,1]
	v_accvgpr_read_b32 v34, a182
	v_mov_b32_e32 v35, v54
	v_mul_f32_e32 v55, v122, v52
	v_mov_b32_e32 v54, v20
	v_mov_b32_e32 v52, v21
	;; [unrolled: 1-line block ×5, first 2 shown]
	v_pk_fma_f32 v[28:29], v[4:5], v[16:17], v[18:19]
	v_mad_u64_u32 v[16:17], s[24:25], s10, v6, 0
	v_mov_b32_e32 v59, v121
	v_pk_mul_f32 v[30:31], v[34:35], v[30:31]
	v_mul_f32_e32 v53, v123, v53
	v_pk_add_f32 v[20:21], v[20:21], v[22:23] neg_lo:[0,1] neg_hi:[0,1]
	v_mov_b32_e32 v4, v17
	v_pk_fma_f32 v[34:35], v[124:125], v[58:59], v[30:31]
	v_pk_fma_f32 v[30:31], v[124:125], v[58:59], v[30:31] neg_lo:[0,0,1] neg_hi:[0,0,1]
	v_pk_add_f32 v[52:53], v[54:55], v[52:53]
	v_mov_b32_e32 v1, v20
	v_mad_u64_u32 v[18:19], s[10:11], s11, v6, v[4:5]
	v_pk_add_f32 v[12:13], v[0:1], v[20:21]
	v_mov_b32_e32 v22, v20
	v_mov_b32_e32 v23, v26
	;; [unrolled: 1-line block ×9, first 2 shown]
	v_pk_add_f32 v[20:21], v[22:23], v[20:21] neg_lo:[0,1] neg_hi:[0,1]
	v_pk_add_f32 v[22:23], v[52:53], v[4:5]
	v_mov_b32_e32 v24, v25
	v_mov_b32_e32 v25, v52
	;; [unrolled: 1-line block ×3, first 2 shown]
	v_pk_add_f32 v[26:27], v[26:27], v[34:35]
	v_mov_b32_e32 v30, v31
	v_mov_b32_e32 v31, v40
	v_pk_add_f32 v[32:33], v[28:29], v[40:41]
	v_mov_b32_e32 v6, v7
	v_mov_b32_e32 v7, v28
	v_pk_add_f32 v[24:25], v[24:25], v[52:53] neg_lo:[0,1] neg_hi:[0,1]
	v_pk_add_f32 v[6:7], v[30:31], v[6:7] neg_lo:[0,1] neg_hi:[0,1]
	v_mov_b32_e32 v28, v32
	v_mov_b32_e32 v29, v13
	;; [unrolled: 1-line block ×4, first 2 shown]
	v_pk_add_f32 v[34:35], v[28:29], v[30:31] neg_lo:[0,1] neg_hi:[0,1]
	v_mov_b32_e32 v28, v6
	v_mov_b32_e32 v29, v21
	;; [unrolled: 1-line block ×4, first 2 shown]
	v_pk_add_f32 v[40:41], v[28:29], v[30:31] neg_lo:[0,1] neg_hi:[0,1]
	v_mov_b32_e32 v28, v20
	v_mov_b32_e32 v29, v7
	v_pk_add_f32 v[52:53], v[6:7], v[24:25]
	v_mov_b32_e32 v7, v25
	v_mov_b32_e32 v23, v33
	;; [unrolled: 1-line block ×3, first 2 shown]
	v_pk_add_f32 v[28:29], v[28:29], v[6:7] neg_lo:[0,1] neg_hi:[0,1]
	v_pk_add_f32 v[30:31], v[26:27], v[32:33] neg_lo:[0,1] neg_hi:[0,1]
	v_mov_b32_e32 v33, v27
	v_pk_add_f32 v[6:7], v[22:23], v[12:13]
	v_accvgpr_read_b32 v123, a75
	v_pk_add_f32 v[6:7], v[32:33], v[6:7]
	v_accvgpr_read_b32 v122, a74
	v_accvgpr_read_b32 v121, a73
	;; [unrolled: 1-line block ×3, first 2 shown]
	v_pk_add_f32 v[26:27], v[48:49], v[6:7]
	v_mov_b32_e32 v45, v15
	v_mov_b32_e32 v4, v51
	v_pk_mul_f32 v[14:15], v[120:121], v[50:51] op_sel_hi:[1,0]
	v_mov_b32_e32 v8, v11
	v_pk_mul_f32 v[48:49], v[122:123], v[10:11] op_sel_hi:[1,0]
	v_pk_fma_f32 v[32:33], v[120:121], v[50:51], v[14:15] op_sel:[0,1,1] op_sel_hi:[1,1,0]
	v_pk_fma_f32 v[14:15], v[120:121], v[4:5], v[14:15] op_sel:[0,0,1] op_sel_hi:[1,1,0] neg_lo:[0,0,1] neg_hi:[0,0,1]
	v_pk_fma_f32 v[50:51], v[122:123], v[10:11], v[48:49] op_sel:[0,1,1] op_sel_hi:[1,1,0]
	v_pk_fma_f32 v[10:11], v[6:7], s[18:19], v[26:27] op_sel_hi:[1,0,1] neg_lo:[1,0,0] neg_hi:[1,0,0]
	v_pk_fma_f32 v[6:7], v[122:123], v[8:9], v[48:49] op_sel:[0,0,1] op_sel_hi:[1,1,0] neg_lo:[0,0,1] neg_hi:[0,0,1]
	v_mov_b32_e32 v47, v5
	v_mov_b32_e32 v15, v33
	;; [unrolled: 1-line block ×7, first 2 shown]
	v_pk_add_f32 v[4:5], v[52:53], v[20:21]
	v_pk_mul_f32 v[32:33], v[40:41], s[22:23]
	v_pk_add_f32 v[40:41], v[46:47], v[6:7]
	v_pk_add_f32 v[48:49], v[46:47], v[6:7] neg_lo:[0,1] neg_hi:[0,1]
	v_pk_add_f32 v[50:51], v[44:45], v[14:15]
	v_pk_add_f32 v[52:53], v[44:45], v[14:15] neg_lo:[0,1] neg_hi:[0,1]
	v_pk_add_f32 v[6:7], v[114:115], v[112:113]
	v_pk_add_f32 v[44:45], v[56:57], v[108:109]
	v_mov_b32_e32 v37, v6
	v_mov_b32_e32 v39, v44
	v_pk_add_f32 v[14:15], v[36:37], v[38:39] neg_lo:[0,1] neg_hi:[0,1]
	v_mov_b32_e32 v47, v49
	v_mov_b32_e32 v46, v14
	;; [unrolled: 1-line block ×4, first 2 shown]
	v_pk_add_f32 v[46:47], v[46:47], v[54:55] neg_lo:[0,1] neg_hi:[0,1]
	v_mov_b32_e32 v54, v48
	v_mov_b32_e32 v56, v14
	;; [unrolled: 1-line block ×3, first 2 shown]
	v_pk_add_f32 v[14:15], v[14:15], v[52:53]
	v_pk_add_f32 v[54:55], v[54:55], v[56:57] neg_lo:[0,1] neg_hi:[0,1]
	v_pk_add_f32 v[56:57], v[14:15], v[48:49]
	v_mov_b32_e32 v14, v51
	v_mov_b32_e32 v15, v38
	;; [unrolled: 1-line block ×4, first 2 shown]
	v_pk_add_f32 v[14:15], v[14:15], v[38:39]
	v_pk_add_f32 v[36:37], v[44:45], v[6:7]
	v_mov_b32_e32 v38, v51
	v_mov_b32_e32 v6, v36
	v_mov_b32_e32 v39, v15
	v_pk_add_f32 v[38:39], v[6:7], v[38:39] neg_lo:[0,1] neg_hi:[0,1]
	v_mov_b32_e32 v58, v41
	v_mov_b32_e32 v59, v15
	;; [unrolled: 1-line block ×3, first 2 shown]
	v_pk_add_f32 v[14:15], v[14:15], v[36:37]
	v_pk_mul_f32 v[46:47], v[46:47], s[22:23]
	v_pk_add_f32 v[58:59], v[58:59], v[44:45] neg_lo:[0,1] neg_hi:[0,1]
	v_pk_add_f32 v[2:3], v[2:3], v[14:15]
	v_pk_mul_f32 v[36:37], v[38:39], s[20:21]
	v_pk_fma_f32 v[38:39], v[14:15], s[18:19], v[2:3] op_sel_hi:[1,0,1] neg_lo:[1,0,0] neg_hi:[1,0,0]
	v_pk_fma_f32 v[14:15], v[58:59], s[4:5], v[36:37]
	v_pk_fma_f32 v[108:109], v[54:55], s[2:3], v[46:47]
	v_pk_add_f32 v[14:15], v[14:15], v[38:39]
	v_pk_fma_f32 v[108:109], v[56:57], s[0:1], v[108:109] op_sel_hi:[1,0,1]
	v_accvgpr_read_b32 v19, a21
	v_pk_add_f32 v[110:111], v[14:15], v[108:109]
	v_pk_add_f32 v[108:109], v[14:15], v[108:109] neg_lo:[0,1] neg_hi:[0,1]
	v_mov_b32_e32 v14, v110
	v_mov_b32_e32 v15, v109
	v_add_u32_e32 v1, 0x2000, v19
	v_pk_mul_f32 v[34:35], v[34:35], s[20:21]
	ds_write2_b64 v1, v[2:3], v[14:15] offset0:152 offset1:208
	v_mov_b32_e32 v1, v9
	v_pk_fma_f32 v[2:3], v[30:31], s[4:5], v[34:35]
	v_pk_mul_f32 v[8:9], v[30:31], s[4:5]
	ds_write_b64 v42, v[0:1] offset:8960
	v_pk_mul_f32 v[0:1], v[54:55], s[2:3]
	v_pk_mul_f32 v[30:31], v[58:59], s[4:5]
	v_mov_b32_e32 v44, v51
	v_mov_b32_e32 v6, v41
	v_pk_add_f32 v[48:49], v[52:53], v[48:49] neg_lo:[0,1] neg_hi:[0,1]
	v_pk_add_f32 v[6:7], v[44:45], v[6:7] neg_lo:[0,1] neg_hi:[0,1]
	v_mov_b32_e32 v40, v30
	v_mov_b32_e32 v41, v37
	;; [unrolled: 1-line block ×6, first 2 shown]
	v_pk_fma_f32 v[40:41], v[6:7], s[16:17], v[40:41] op_sel_hi:[1,0,1] neg_lo:[1,0,1] neg_hi:[1,0,1]
	v_pk_fma_f32 v[44:45], v[48:49], s[14:15], v[44:45] op_sel_hi:[1,0,1] neg_lo:[1,0,1] neg_hi:[1,0,1]
	;; [unrolled: 1-line block ×4, first 2 shown]
	v_pk_add_f32 v[40:41], v[40:41], v[38:39]
	v_pk_fma_f32 v[44:45], v[56:57], s[0:1], v[44:45] op_sel_hi:[1,0,1]
	v_pk_add_f32 v[6:7], v[6:7], v[38:39]
	v_pk_fma_f32 v[0:1], v[56:57], s[0:1], v[0:1] op_sel_hi:[1,0,1]
	v_pk_fma_f32 v[14:15], v[28:29], s[2:3], v[32:33]
	v_pk_add_f32 v[50:51], v[40:41], v[44:45]
	v_pk_add_f32 v[40:41], v[40:41], v[44:45] neg_lo:[0,1] neg_hi:[0,1]
	v_pk_add_f32 v[30:31], v[6:7], v[0:1] neg_lo:[0,1] neg_hi:[0,1]
	v_pk_add_f32 v[0:1], v[6:7], v[0:1]
	v_pk_add_f32 v[2:3], v[2:3], v[10:11]
	v_pk_fma_f32 v[14:15], v[4:5], s[0:1], v[14:15] op_sel_hi:[1,0,1]
	v_mov_b32_e32 v44, v50
	v_mov_b32_e32 v45, v41
	v_mov_b32_e32 v6, v30
	v_mov_b32_e32 v7, v1
	v_add_u32_e32 v17, 0x2800, v19
	v_mov_b32_e32 v1, v31
	v_mov_b32_e32 v41, v51
	v_pk_add_f32 v[112:113], v[2:3], v[14:15] neg_lo:[0,1] neg_hi:[0,1]
	v_pk_add_f32 v[2:3], v[2:3], v[14:15]
	ds_write2_b64 v17, v[44:45], v[6:7] offset0:8 offset1:64
	ds_write2_b64 v17, v[0:1], v[40:41] offset0:120 offset1:176
	v_accvgpr_read_b32 v17, a17
	v_pk_mul_f32 v[28:29], v[28:29], s[2:3]
	v_mov_b32_e32 v0, v2
	v_mov_b32_e32 v1, v113
	v_add_u32_e32 v2, 0x3000, v17
	ds_write2_b64 v2, v[26:27], v[0:1] offset0:32 offset1:88
	v_pk_add_f32 v[0:1], v[22:23], v[12:13] neg_lo:[0,1] neg_hi:[0,1]
	v_pk_add_f32 v[6:7], v[24:25], v[20:21] neg_lo:[0,1] neg_hi:[0,1]
	v_mov_b32_e32 v12, v8
	v_mov_b32_e32 v13, v35
	;; [unrolled: 1-line block ×6, first 2 shown]
	v_pk_fma_f32 v[12:13], v[0:1], s[16:17], v[12:13] op_sel_hi:[1,0,1] neg_lo:[1,0,1] neg_hi:[1,0,1]
	v_pk_fma_f32 v[20:21], v[6:7], s[14:15], v[20:21] op_sel_hi:[1,0,1] neg_lo:[1,0,1] neg_hi:[1,0,1]
	;; [unrolled: 1-line block ×4, first 2 shown]
	v_pk_add_f32 v[12:13], v[12:13], v[10:11]
	v_pk_fma_f32 v[20:21], v[4:5], s[0:1], v[20:21] op_sel_hi:[1,0,1]
	v_pk_add_f32 v[0:1], v[0:1], v[10:11]
	v_pk_fma_f32 v[4:5], v[4:5], s[0:1], v[6:7] op_sel_hi:[1,0,1]
	v_pk_add_f32 v[22:23], v[12:13], v[20:21] neg_lo:[0,1] neg_hi:[0,1]
	v_pk_add_f32 v[12:13], v[12:13], v[20:21]
	v_pk_add_f32 v[6:7], v[0:1], v[4:5]
	v_pk_add_f32 v[0:1], v[0:1], v[4:5] neg_lo:[0,1] neg_hi:[0,1]
	v_mov_b32_e32 v109, v111
	v_mov_b32_e32 v20, v12
	;; [unrolled: 1-line block ×7, first 2 shown]
	v_add_u32_e32 v0, 0x3800, v17
	v_mov_b32_e32 v113, v3
	ds_write_b64 v19, v[108:109] offset:12096
	ds_write2_b64 v2, v[20:21], v[4:5] offset0:144 offset1:200
	ds_write2_b64 v0, v[6:7], v[22:23] offset1:56
	ds_write_b64 v17, v[112:113] offset:15232
	s_waitcnt lgkmcnt(0)
	; wave barrier
	s_waitcnt lgkmcnt(0)
	ds_read2_b64 v[0:3], v144 offset0:80 offset1:136
	ds_read2_b64 v[10:13], v182 offset1:56
	ds_read2_b64 v[4:7], v142 offset0:16 offset1:72
	ds_read2_b64 v[24:27], v145 offset0:96 offset1:152
	;; [unrolled: 1-line block ×3, first 2 shown]
	s_waitcnt lgkmcnt(4)
	v_pk_mul_f32 v[8:9], v[104:105], v[2:3]
	s_mov_b32 s2, 0x3f737871
	v_pk_fma_f32 v[40:41], v[200:201], v[2:3], v[8:9] op_sel:[0,0,1] op_sel_hi:[1,1,0]
	v_pk_fma_f32 v[2:3], v[200:201], v[2:3], v[8:9] op_sel:[0,0,1] op_sel_hi:[1,1,0] neg_lo:[0,0,1] neg_hi:[0,0,1]
	s_mov_b32 s4, 0x3f167918
	v_mov_b32_e32 v41, v3
	s_waitcnt lgkmcnt(2)
	v_pk_mul_f32 v[2:3], v[106:107], v[4:5]
	v_pk_add_f32 v[8:9], v[10:11], v[40:41]
	v_pk_fma_f32 v[52:53], v[196:197], v[4:5], v[2:3] op_sel:[0,0,1] op_sel_hi:[1,1,0]
	v_pk_fma_f32 v[2:3], v[196:197], v[4:5], v[2:3] op_sel:[0,0,1] op_sel_hi:[1,1,0] neg_lo:[0,0,1] neg_hi:[0,0,1]
	s_mov_b32 s0, 0x3e9e377a
	v_mov_b32_e32 v53, v3
	s_waitcnt lgkmcnt(1)
	v_pk_mul_f32 v[2:3], v[100:101], v[26:27]
	v_pk_add_f32 v[8:9], v[8:9], v[52:53]
	v_pk_fma_f32 v[54:55], v[242:243], v[26:27], v[2:3] op_sel:[0,0,1] op_sel_hi:[1,1,0]
	v_pk_fma_f32 v[2:3], v[242:243], v[26:27], v[2:3] op_sel:[0,0,1] op_sel_hi:[1,1,0] neg_lo:[0,0,1] neg_hi:[0,0,1]
	ds_read2_b64 v[26:29], v146 offset0:80 offset1:136
	v_mov_b32_e32 v55, v3
	s_waitcnt lgkmcnt(1)
	v_pk_mul_f32 v[2:3], v[102:103], v[20:21]
	v_pk_add_f32 v[8:9], v[8:9], v[54:55]
	v_pk_fma_f32 v[100:101], v[252:253], v[20:21], v[2:3] op_sel:[0,0,1] op_sel_hi:[1,1,0]
	v_pk_fma_f32 v[2:3], v[252:253], v[20:21], v[2:3] op_sel:[0,0,1] op_sel_hi:[1,1,0] neg_lo:[0,0,1] neg_hi:[0,0,1]
	v_mov_b32_e32 v14, s12
	v_mov_b32_e32 v101, v3
	ds_read2_b64 v[2:5], v144 offset0:192 offset1:248
	v_pk_add_f32 v[48:49], v[8:9], v[100:101]
	v_mov_b32_e32 v15, s13
	v_mov_b32_e32 v17, v18
	;; [unrolled: 1-line block ×3, first 2 shown]
	s_waitcnt lgkmcnt(0)
	v_pk_mul_f32 v[8:9], v[96:97], v[2:3]
	s_mul_i32 s11, s9, 0xffffd3d0
	v_pk_fma_f32 v[96:97], v[188:189], v[2:3], v[8:9] op_sel:[0,0,1] op_sel_hi:[1,1,0]
	v_pk_fma_f32 v[2:3], v[188:189], v[2:3], v[8:9] op_sel:[0,0,1] op_sel_hi:[1,1,0] neg_lo:[0,0,1] neg_hi:[0,0,1]
	s_sub_i32 s11, s11, s8
	v_mov_b32_e32 v97, v3
	v_pk_mul_f32 v[2:3], v[98:99], v[6:7]
	s_movk_i32 s10, 0x1000
	v_pk_fma_f32 v[98:99], v[254:255], v[6:7], v[2:3] op_sel:[0,0,1] op_sel_hi:[1,1,0]
	v_pk_fma_f32 v[2:3], v[254:255], v[6:7], v[2:3] op_sel:[0,0,1] op_sel_hi:[1,1,0] neg_lo:[0,0,1] neg_hi:[0,0,1]
	s_nop 0
	v_mov_b32_e32 v99, v3
	v_pk_mul_f32 v[2:3], v[92:93], v[26:27]
	s_nop 0
	v_pk_fma_f32 v[92:93], v[244:245], v[26:27], v[2:3] op_sel:[0,0,1] op_sel_hi:[1,1,0]
	v_pk_fma_f32 v[2:3], v[244:245], v[26:27], v[2:3] op_sel:[0,0,1] op_sel_hi:[1,1,0] neg_lo:[0,0,1] neg_hi:[0,0,1]
	s_nop 0
	v_mov_b32_e32 v93, v3
	v_pk_mul_f32 v[2:3], v[94:95], v[22:23]
	s_nop 0
	v_pk_fma_f32 v[94:95], v[180:181], v[22:23], v[2:3] op_sel:[0,0,1] op_sel_hi:[1,1,0]
	v_pk_fma_f32 v[2:3], v[180:181], v[22:23], v[2:3] op_sel:[0,0,1] op_sel_hi:[1,1,0] neg_lo:[0,0,1] neg_hi:[0,0,1]
	ds_read2_b64 v[6:9], v182 offset0:112 offset1:168
	ds_read2_b64 v[20:23], v142 offset0:128 offset1:184
	;; [unrolled: 1-line block ×3, first 2 shown]
	v_mov_b32_e32 v95, v3
	v_pk_add_f32 v[2:3], v[12:13], v[96:97]
	ds_read2_b64 v[34:37], v143 offset0:64 offset1:120
	v_pk_add_f32 v[2:3], v[2:3], v[98:99]
	s_nop 0
	v_pk_add_f32 v[2:3], v[2:3], v[92:93]
	s_nop 0
	v_pk_add_f32 v[50:51], v[2:3], v[94:95]
	v_pk_mul_f32 v[2:3], v[88:89], v[4:5]
	s_nop 0
	v_pk_fma_f32 v[88:89], v[194:195], v[4:5], v[2:3] op_sel:[0,0,1] op_sel_hi:[1,1,0]
	v_pk_fma_f32 v[2:3], v[194:195], v[4:5], v[2:3] op_sel:[0,0,1] op_sel_hi:[1,1,0] neg_lo:[0,0,1] neg_hi:[0,0,1]
	s_nop 0
	v_mov_b32_e32 v89, v3
	s_waitcnt lgkmcnt(2)
	v_pk_mul_f32 v[2:3], v[90:91], v[20:21]
	s_nop 0
	v_pk_fma_f32 v[90:91], v[198:199], v[20:21], v[2:3] op_sel:[0,0,1] op_sel_hi:[1,1,0]
	v_pk_fma_f32 v[2:3], v[198:199], v[20:21], v[2:3] op_sel:[0,0,1] op_sel_hi:[1,1,0] neg_lo:[0,0,1] neg_hi:[0,0,1]
	s_nop 0
	v_mov_b32_e32 v91, v3
	v_pk_mul_f32 v[2:3], v[84:85], v[28:29]
	s_nop 0
	v_pk_fma_f32 v[84:85], v[192:193], v[28:29], v[2:3] op_sel:[0,0,1] op_sel_hi:[1,1,0]
	v_pk_fma_f32 v[2:3], v[192:193], v[28:29], v[2:3] op_sel:[0,0,1] op_sel_hi:[1,1,0] neg_lo:[0,0,1] neg_hi:[0,0,1]
	ds_read2_b64 v[26:29], v43 offset0:48 offset1:104
	v_mov_b32_e32 v85, v3
	s_waitcnt lgkmcnt(2)
	v_pk_mul_f32 v[2:3], v[86:87], v[30:31]
	s_nop 0
	v_pk_fma_f32 v[86:87], v[190:191], v[30:31], v[2:3] op_sel:[0,0,1] op_sel_hi:[1,1,0]
	v_pk_fma_f32 v[2:3], v[190:191], v[30:31], v[2:3] op_sel:[0,0,1] op_sel_hi:[1,1,0] neg_lo:[0,0,1] neg_hi:[0,0,1]
	s_nop 0
	v_mov_b32_e32 v87, v3
	v_pk_add_f32 v[2:3], v[6:7], v[88:89]
	s_nop 0
	v_pk_add_f32 v[2:3], v[2:3], v[90:91]
	s_nop 0
	;; [unrolled: 2-line block ×3, first 2 shown]
	v_pk_add_f32 v[30:31], v[2:3], v[86:87]
	s_waitcnt lgkmcnt(0)
	v_pk_mul_f32 v[2:3], v[80:81], v[26:27]
	s_nop 0
	v_pk_fma_f32 v[80:81], v[250:251], v[26:27], v[2:3] op_sel:[0,0,1] op_sel_hi:[1,1,0]
	v_pk_fma_f32 v[2:3], v[250:251], v[26:27], v[2:3] op_sel:[0,0,1] op_sel_hi:[1,1,0] neg_lo:[0,0,1] neg_hi:[0,0,1]
	s_nop 0
	v_mov_b32_e32 v81, v3
	v_pk_mul_f32 v[2:3], v[82:83], v[22:23]
	s_nop 0
	v_pk_fma_f32 v[82:83], v[248:249], v[22:23], v[2:3] op_sel:[0,0,1] op_sel_hi:[1,1,0]
	v_pk_fma_f32 v[2:3], v[248:249], v[22:23], v[2:3] op_sel:[0,0,1] op_sel_hi:[1,1,0] neg_lo:[0,0,1] neg_hi:[0,0,1]
	s_nop 0
	v_mov_b32_e32 v83, v3
	v_pk_mul_f32 v[2:3], v[76:77], v[34:35]
	s_nop 0
	v_pk_fma_f32 v[76:77], v[246:247], v[34:35], v[2:3] op_sel:[0,0,1] op_sel_hi:[1,1,0]
	v_pk_fma_f32 v[2:3], v[246:247], v[34:35], v[2:3] op_sel:[0,0,1] op_sel_hi:[1,1,0] neg_lo:[0,0,1] neg_hi:[0,0,1]
	s_nop 0
	v_mov_b32_e32 v77, v3
	v_pk_mul_f32 v[2:3], v[78:79], v[32:33]
	s_nop 0
	v_pk_fma_f32 v[78:79], v[240:241], v[32:33], v[2:3] op_sel:[0,0,1] op_sel_hi:[1,1,0]
	v_pk_fma_f32 v[2:3], v[240:241], v[32:33], v[2:3] op_sel:[0,0,1] op_sel_hi:[1,1,0] neg_lo:[0,0,1] neg_hi:[0,0,1]
	v_pk_mul_f32 v[32:33], v[72:73], v[28:29]
	v_mov_b32_e32 v79, v3
	v_pk_add_f32 v[2:3], v[8:9], v[80:81]
	v_pk_fma_f32 v[34:35], v[238:239], v[28:29], v[32:33] op_sel:[0,0,1] op_sel_hi:[1,1,0]
	v_pk_add_f32 v[2:3], v[2:3], v[82:83]
	v_pk_fma_f32 v[28:29], v[238:239], v[28:29], v[32:33] op_sel:[0,0,1] op_sel_hi:[1,1,0] neg_lo:[0,0,1] neg_hi:[0,0,1]
	v_pk_add_f32 v[2:3], v[2:3], v[76:77]
	v_mov_b32_e32 v35, v29
	v_pk_add_f32 v[26:27], v[2:3], v[78:79]
	ds_read2_b64 v[2:5], v137 offset0:96 offset1:152
	ds_read2_b64 v[20:23], v119 offset0:112 offset1:168
	ds_read2_b64 v[44:47], v118 offset1:56
	ds_write2_b64 v182, v[48:49], v[50:51] offset1:56
	ds_read2_b64 v[48:51], v43 offset0:160 offset1:216
	ds_read2_b64 v[56:59], v143 offset0:176 offset1:232
	s_waitcnt lgkmcnt(4)
	v_pk_mul_f32 v[28:29], v[74:75], v[20:21]
	ds_write2_b64 v182, v[30:31], v[26:27] offset0:112 offset1:168
	v_pk_fma_f32 v[38:39], v[236:237], v[20:21], v[28:29] op_sel:[0,0,1] op_sel_hi:[1,1,0]
	v_pk_fma_f32 v[20:21], v[236:237], v[20:21], v[28:29] op_sel:[0,0,1] op_sel_hi:[1,1,0] neg_lo:[0,0,1] neg_hi:[0,0,1]
	s_nop 0
	v_mov_b32_e32 v39, v21
	v_pk_mul_f32 v[20:21], v[68:69], v[36:37]
	s_nop 0
	v_pk_fma_f32 v[68:69], v[186:187], v[36:37], v[20:21] op_sel:[0,0,1] op_sel_hi:[1,1,0]
	v_pk_fma_f32 v[20:21], v[186:187], v[36:37], v[20:21] op_sel:[0,0,1] op_sel_hi:[1,1,0] neg_lo:[0,0,1] neg_hi:[0,0,1]
	s_nop 0
	v_mov_b32_e32 v69, v21
	s_waitcnt lgkmcnt(4)
	v_pk_mul_f32 v[20:21], v[70:71], v[44:45]
	s_nop 0
	v_pk_fma_f32 v[70:71], v[178:179], v[44:45], v[20:21] op_sel:[0,0,1] op_sel_hi:[1,1,0]
	v_pk_fma_f32 v[20:21], v[178:179], v[44:45], v[20:21] op_sel:[0,0,1] op_sel_hi:[1,1,0] neg_lo:[0,0,1] neg_hi:[0,0,1]
	s_nop 0
	v_mov_b32_e32 v71, v21
	v_pk_add_f32 v[20:21], v[2:3], v[34:35]
	s_nop 0
	v_pk_add_f32 v[20:21], v[20:21], v[38:39]
	s_nop 0
	;; [unrolled: 2-line block ×3, first 2 shown]
	v_pk_add_f32 v[44:45], v[20:21], v[70:71]
	s_waitcnt lgkmcnt(2)
	v_pk_mul_f32 v[20:21], v[64:65], v[48:49]
	v_pk_add_f32 v[64:65], v[40:41], v[52:53] neg_lo:[0,1] neg_hi:[0,1]
	v_pk_fma_f32 v[26:27], v[176:177], v[48:49], v[20:21] op_sel:[0,0,1] op_sel_hi:[1,1,0]
	v_pk_fma_f32 v[20:21], v[176:177], v[48:49], v[20:21] op_sel:[0,0,1] op_sel_hi:[1,1,0] neg_lo:[0,0,1] neg_hi:[0,0,1]
	ds_read_b64 v[48:49], v182 offset:15232
	v_mov_b32_e32 v27, v21
	v_pk_mul_f32 v[20:21], v[66:67], v[22:23]
	v_pk_add_f32 v[66:67], v[100:101], v[54:55] neg_lo:[0,1] neg_hi:[0,1]
	v_pk_fma_f32 v[30:31], v[208:209], v[22:23], v[20:21] op_sel:[0,0,1] op_sel_hi:[1,1,0]
	v_pk_fma_f32 v[20:21], v[208:209], v[22:23], v[20:21] op_sel:[0,0,1] op_sel_hi:[1,1,0] neg_lo:[0,0,1] neg_hi:[0,0,1]
	v_pk_add_f32 v[64:65], v[64:65], v[66:67]
	v_mov_b32_e32 v31, v21
	s_waitcnt lgkmcnt(2)
	v_pk_mul_f32 v[20:21], v[60:61], v[56:57]
	s_nop 0
	v_pk_fma_f32 v[32:33], v[172:173], v[56:57], v[20:21] op_sel:[0,0,1] op_sel_hi:[1,1,0]
	v_pk_fma_f32 v[20:21], v[172:173], v[56:57], v[20:21] op_sel:[0,0,1] op_sel_hi:[1,1,0] neg_lo:[0,0,1] neg_hi:[0,0,1]
	v_accvgpr_read_b32 v56, a114
	v_mov_b32_e32 v33, v21
	v_pk_mul_f32 v[20:21], v[62:63], v[46:47]
	v_accvgpr_read_b32 v60, a106
	v_pk_fma_f32 v[36:37], v[168:169], v[46:47], v[20:21] op_sel:[0,0,1] op_sel_hi:[1,1,0]
	v_pk_fma_f32 v[20:21], v[168:169], v[46:47], v[20:21] op_sel:[0,0,1] op_sel_hi:[1,1,0] neg_lo:[0,0,1] neg_hi:[0,0,1]
	v_accvgpr_read_b32 v61, a107
	v_mov_b32_e32 v37, v21
	v_pk_add_f32 v[20:21], v[4:5], v[26:27]
	v_accvgpr_read_b32 v62, a108
	v_pk_add_f32 v[20:21], v[20:21], v[30:31]
	v_accvgpr_read_b32 v57, a115
	v_pk_add_f32 v[20:21], v[20:21], v[32:33]
	s_nop 0
	v_pk_add_f32 v[46:47], v[20:21], v[36:37]
	v_mov_b32_e32 v20, v61
	v_pk_mul_f32 v[22:23], v[20:21], v[50:51] op_sel_hi:[0,1]
	v_pk_fma_f32 v[20:21], v[60:61], v[50:51], v[22:23] op_sel:[0,0,1] op_sel_hi:[1,1,0]
	v_pk_fma_f32 v[22:23], v[60:61], v[50:51], v[22:23] op_sel:[0,0,1] op_sel_hi:[0,1,0] neg_lo:[0,0,1] neg_hi:[0,0,1]
	v_accvgpr_read_b32 v50, a116
	v_accvgpr_read_b32 v51, a117
	v_pk_mul_f32 v[28:29], v[50:51], v[24:25] op_sel_hi:[0,1]
	v_mov_b32_e32 v21, v23
	v_pk_fma_f32 v[22:23], v[62:63], v[24:25], v[28:29] op_sel:[0,0,1] op_sel_hi:[1,1,0]
	v_pk_fma_f32 v[24:25], v[62:63], v[24:25], v[28:29] op_sel:[0,0,1] op_sel_hi:[0,1,0] neg_lo:[0,0,1] neg_hi:[0,0,1]
	v_accvgpr_read_b32 v24, a122
	v_pk_mul_f32 v[28:29], v[24:25], v[58:59] op_sel_hi:[0,1]
	v_mov_b32_e32 v23, v25
	v_pk_fma_f32 v[24:25], v[50:51], v[58:59], v[28:29] op_sel:[1,0,1] op_sel_hi:[1,1,0]
	v_pk_fma_f32 v[28:29], v[50:51], v[58:59], v[28:29] op_sel:[1,0,1] op_sel_hi:[1,1,0] neg_lo:[0,0,1] neg_hi:[0,0,1]
	s_waitcnt lgkmcnt(0)
	v_pk_mul_f32 v[50:51], v[56:57], v[48:49] op_sel:[1,0]
	v_mov_b32_e32 v25, v29
	v_pk_fma_f32 v[28:29], v[56:57], v[48:49], v[50:51] op_sel:[0,0,1] op_sel_hi:[1,1,0]
	v_pk_fma_f32 v[48:49], v[56:57], v[48:49], v[50:51] op_sel:[0,0,1] op_sel_hi:[0,1,0] neg_lo:[0,0,1] neg_hi:[0,0,1]
	v_pk_add_f32 v[50:51], v[52:53], v[54:55]
	v_pk_add_f32 v[56:57], v[40:41], v[100:101] neg_lo:[0,1] neg_hi:[0,1]
	v_pk_fma_f32 v[50:51], v[50:51], 0.5, v[10:11] op_sel_hi:[1,0,1] neg_lo:[1,0,0] neg_hi:[1,0,0]
	v_pk_mul_f32 v[58:59], v[56:57], s[2:3] op_sel_hi:[1,0]
	v_pk_add_f32 v[60:61], v[52:53], v[54:55] neg_lo:[0,1] neg_hi:[0,1]
	v_pk_add_f32 v[66:67], v[50:51], v[58:59] op_sel:[0,1] op_sel_hi:[1,0] neg_lo:[0,1] neg_hi:[0,1]
	v_pk_mul_f32 v[62:63], v[60:61], s[4:5] op_sel_hi:[1,0]
	v_pk_add_f32 v[50:51], v[50:51], v[58:59] op_sel:[0,1] op_sel_hi:[1,0]
	v_pk_add_f32 v[58:59], v[66:67], v[62:63] op_sel:[0,1] op_sel_hi:[1,0] neg_lo:[0,1] neg_hi:[0,1]
	v_pk_add_f32 v[50:51], v[50:51], v[62:63] op_sel:[0,1] op_sel_hi:[1,0]
	v_mov_b32_e32 v62, v58
	v_mov_b32_e32 v63, v51
	v_mov_b32_e32 v51, v59
	v_pk_add_f32 v[58:59], v[40:41], v[100:101]
	v_pk_add_f32 v[40:41], v[52:53], v[40:41] neg_lo:[0,1] neg_hi:[0,1]
	v_pk_add_f32 v[52:53], v[54:55], v[100:101] neg_lo:[0,1] neg_hi:[0,1]
	v_pk_fma_f32 v[10:11], v[58:59], 0.5, v[10:11] op_sel_hi:[1,0,1] neg_lo:[1,0,0] neg_hi:[1,0,0]
	v_pk_add_f32 v[40:41], v[40:41], v[52:53]
	v_pk_mul_f32 v[52:53], v[60:61], s[2:3] op_sel_hi:[1,0]
	v_pk_mul_f32 v[54:55], v[56:57], s[4:5] op_sel_hi:[1,0]
	v_pk_add_f32 v[56:57], v[10:11], v[52:53] op_sel:[0,1] op_sel_hi:[1,0]
	v_pk_add_f32 v[10:11], v[10:11], v[52:53] op_sel:[0,1] op_sel_hi:[1,0] neg_lo:[0,1] neg_hi:[0,1]
	v_pk_add_f32 v[52:53], v[56:57], v[54:55] op_sel:[0,1] op_sel_hi:[1,0] neg_lo:[0,1] neg_hi:[0,1]
	v_pk_add_f32 v[10:11], v[10:11], v[54:55] op_sel:[0,1] op_sel_hi:[1,0]
	v_mov_b32_e32 v54, v52
	v_mov_b32_e32 v55, v11
	;; [unrolled: 1-line block ×3, first 2 shown]
	v_pk_fma_f32 v[54:55], v[40:41], s[0:1], v[54:55] op_sel_hi:[1,0,1]
	v_pk_fma_f32 v[10:11], v[40:41], s[0:1], v[10:11] op_sel_hi:[1,0,1]
	v_pk_add_f32 v[40:41], v[98:99], v[92:93]
	v_pk_add_f32 v[52:53], v[96:97], v[94:95] neg_lo:[0,1] neg_hi:[0,1]
	v_pk_fma_f32 v[62:63], v[64:65], s[0:1], v[62:63] op_sel_hi:[1,0,1]
	v_pk_fma_f32 v[50:51], v[64:65], s[0:1], v[50:51] op_sel_hi:[1,0,1]
	v_pk_fma_f32 v[40:41], v[40:41], 0.5, v[12:13] op_sel_hi:[1,0,1] neg_lo:[1,0,0] neg_hi:[1,0,0]
	v_pk_mul_f32 v[56:57], v[52:53], s[2:3] op_sel_hi:[1,0]
	v_pk_add_f32 v[58:59], v[98:99], v[92:93] neg_lo:[0,1] neg_hi:[0,1]
	v_pk_add_f32 v[64:65], v[96:97], v[98:99] neg_lo:[0,1] neg_hi:[0,1]
	;; [unrolled: 1-line block ×3, first 2 shown]
	v_pk_mul_f32 v[60:61], v[58:59], s[4:5] op_sel_hi:[1,0]
	v_pk_add_f32 v[64:65], v[64:65], v[66:67]
	v_pk_add_f32 v[66:67], v[40:41], v[56:57] op_sel:[0,1] op_sel_hi:[1,0] neg_lo:[0,1] neg_hi:[0,1]
	v_pk_add_f32 v[40:41], v[40:41], v[56:57] op_sel:[0,1] op_sel_hi:[1,0]
	v_pk_add_f32 v[56:57], v[66:67], v[60:61] op_sel:[0,1] op_sel_hi:[1,0] neg_lo:[0,1] neg_hi:[0,1]
	v_pk_add_f32 v[40:41], v[40:41], v[60:61] op_sel:[0,1] op_sel_hi:[1,0]
	v_mov_b32_e32 v60, v56
	v_mov_b32_e32 v61, v41
	;; [unrolled: 1-line block ×3, first 2 shown]
	v_pk_fma_f32 v[40:41], v[64:65], s[0:1], v[40:41] op_sel_hi:[1,0,1]
	ds_write2_b64 v136, v[50:51], v[40:41] offset0:32 offset1:88
	v_pk_add_f32 v[40:41], v[96:97], v[94:95]
	v_pk_add_f32 v[50:51], v[92:93], v[94:95] neg_lo:[0,1] neg_hi:[0,1]
	v_pk_fma_f32 v[12:13], v[40:41], 0.5, v[12:13] op_sel_hi:[1,0,1] neg_lo:[1,0,0] neg_hi:[1,0,0]
	v_pk_add_f32 v[40:41], v[98:99], v[96:97] neg_lo:[0,1] neg_hi:[0,1]
	v_pk_mul_f32 v[52:53], v[52:53], s[4:5] op_sel_hi:[1,0]
	v_pk_add_f32 v[40:41], v[40:41], v[50:51]
	v_pk_mul_f32 v[50:51], v[58:59], s[2:3] op_sel_hi:[1,0]
	v_pk_fma_f32 v[60:61], v[64:65], s[0:1], v[60:61] op_sel_hi:[1,0,1]
	v_pk_add_f32 v[56:57], v[12:13], v[50:51] op_sel:[0,1] op_sel_hi:[1,0]
	v_pk_add_f32 v[12:13], v[12:13], v[50:51] op_sel:[0,1] op_sel_hi:[1,0] neg_lo:[0,1] neg_hi:[0,1]
	v_pk_add_f32 v[50:51], v[56:57], v[52:53] op_sel:[0,1] op_sel_hi:[1,0] neg_lo:[0,1] neg_hi:[0,1]
	v_pk_add_f32 v[12:13], v[12:13], v[52:53] op_sel:[0,1] op_sel_hi:[1,0]
	v_mov_b32_e32 v52, v50
	v_mov_b32_e32 v53, v13
	;; [unrolled: 1-line block ×3, first 2 shown]
	v_pk_fma_f32 v[12:13], v[40:41], s[0:1], v[12:13] op_sel_hi:[1,0,1]
	v_pk_fma_f32 v[52:53], v[40:41], s[0:1], v[52:53] op_sel_hi:[1,0,1]
	ds_write2_b64 v145, v[10:11], v[12:13] offset0:152 offset1:208
	ds_write2_b64 v142, v[54:55], v[52:53] offset0:16 offset1:72
	v_pk_add_f32 v[10:11], v[90:91], v[84:85]
	v_pk_add_f32 v[12:13], v[88:89], v[86:87] neg_lo:[0,1] neg_hi:[0,1]
	v_pk_fma_f32 v[10:11], v[10:11], 0.5, v[6:7] op_sel_hi:[1,0,1] neg_lo:[1,0,0] neg_hi:[1,0,0]
	v_pk_mul_f32 v[40:41], v[12:13], s[2:3] op_sel_hi:[1,0]
	v_pk_add_f32 v[50:51], v[90:91], v[84:85] neg_lo:[0,1] neg_hi:[0,1]
	v_pk_add_f32 v[54:55], v[88:89], v[90:91] neg_lo:[0,1] neg_hi:[0,1]
	;; [unrolled: 1-line block ×3, first 2 shown]
	v_pk_mul_f32 v[52:53], v[50:51], s[4:5] op_sel_hi:[1,0]
	v_pk_add_f32 v[54:55], v[54:55], v[56:57]
	v_pk_add_f32 v[56:57], v[10:11], v[40:41] op_sel:[0,1] op_sel_hi:[1,0] neg_lo:[0,1] neg_hi:[0,1]
	v_pk_add_f32 v[10:11], v[10:11], v[40:41] op_sel:[0,1] op_sel_hi:[1,0]
	v_pk_add_f32 v[40:41], v[56:57], v[52:53] op_sel:[0,1] op_sel_hi:[1,0] neg_lo:[0,1] neg_hi:[0,1]
	v_pk_add_f32 v[10:11], v[10:11], v[52:53] op_sel:[0,1] op_sel_hi:[1,0]
	v_mov_b32_e32 v52, v40
	v_mov_b32_e32 v53, v11
	;; [unrolled: 1-line block ×3, first 2 shown]
	v_pk_fma_f32 v[10:11], v[54:55], s[0:1], v[10:11] op_sel_hi:[1,0,1]
	ds_write_b64 v182, v[10:11] offset:13440
	v_pk_add_f32 v[10:11], v[88:89], v[86:87]
	v_pk_add_f32 v[40:41], v[84:85], v[86:87] neg_lo:[0,1] neg_hi:[0,1]
	v_pk_fma_f32 v[6:7], v[10:11], 0.5, v[6:7] op_sel_hi:[1,0,1] neg_lo:[1,0,0] neg_hi:[1,0,0]
	v_pk_add_f32 v[10:11], v[90:91], v[88:89] neg_lo:[0,1] neg_hi:[0,1]
	v_pk_mul_f32 v[12:13], v[12:13], s[4:5] op_sel_hi:[1,0]
	v_pk_add_f32 v[10:11], v[10:11], v[40:41]
	v_pk_mul_f32 v[40:41], v[50:51], s[2:3] op_sel_hi:[1,0]
	v_pk_fma_f32 v[52:53], v[54:55], s[0:1], v[52:53] op_sel_hi:[1,0,1]
	v_pk_add_f32 v[50:51], v[6:7], v[40:41] op_sel:[0,1] op_sel_hi:[1,0]
	v_pk_add_f32 v[6:7], v[6:7], v[40:41] op_sel:[0,1] op_sel_hi:[1,0] neg_lo:[0,1] neg_hi:[0,1]
	v_pk_add_f32 v[54:55], v[78:79], v[76:77] neg_lo:[0,1] neg_hi:[0,1]
	v_pk_add_f32 v[6:7], v[6:7], v[12:13] op_sel:[0,1] op_sel_hi:[1,0]
	v_pk_add_f32 v[12:13], v[50:51], v[12:13] op_sel:[0,1] op_sel_hi:[1,0] neg_lo:[0,1] neg_hi:[0,1]
	v_mov_b32_e32 v41, v7
	v_mov_b32_e32 v7, v13
	;; [unrolled: 1-line block ×3, first 2 shown]
	v_pk_fma_f32 v[6:7], v[10:11], s[0:1], v[6:7] op_sel_hi:[1,0,1]
	v_pk_fma_f32 v[40:41], v[10:11], s[0:1], v[40:41] op_sel_hi:[1,0,1]
	ds_write_b64 v182, v[6:7] offset:10304
	ds_write_b64 v182, v[40:41] offset:7168
	ds_write2_b64 v144, v[60:61], v[52:53] offset0:192 offset1:248
	v_pk_add_f32 v[6:7], v[82:83], v[76:77]
	v_pk_add_f32 v[10:11], v[80:81], v[78:79] neg_lo:[0,1] neg_hi:[0,1]
	v_pk_fma_f32 v[6:7], v[6:7], 0.5, v[8:9] op_sel_hi:[1,0,1] neg_lo:[1,0,0] neg_hi:[1,0,0]
	v_pk_mul_f32 v[12:13], v[10:11], s[2:3] op_sel_hi:[1,0]
	v_pk_add_f32 v[40:41], v[82:83], v[76:77] neg_lo:[0,1] neg_hi:[0,1]
	v_pk_add_f32 v[52:53], v[80:81], v[82:83] neg_lo:[0,1] neg_hi:[0,1]
	v_pk_mul_f32 v[50:51], v[40:41], s[4:5] op_sel_hi:[1,0]
	v_pk_add_f32 v[52:53], v[52:53], v[54:55]
	v_pk_add_f32 v[54:55], v[6:7], v[12:13] op_sel:[0,1] op_sel_hi:[1,0] neg_lo:[0,1] neg_hi:[0,1]
	v_pk_add_f32 v[6:7], v[6:7], v[12:13] op_sel:[0,1] op_sel_hi:[1,0]
	v_pk_add_f32 v[12:13], v[54:55], v[50:51] op_sel:[0,1] op_sel_hi:[1,0] neg_lo:[0,1] neg_hi:[0,1]
	v_pk_add_f32 v[6:7], v[6:7], v[50:51] op_sel:[0,1] op_sel_hi:[1,0]
	v_mov_b32_e32 v50, v12
	v_mov_b32_e32 v51, v7
	;; [unrolled: 1-line block ×3, first 2 shown]
	v_pk_fma_f32 v[6:7], v[52:53], s[0:1], v[6:7] op_sel_hi:[1,0,1]
	ds_write_b64 v182, v[6:7] offset:13888
	v_pk_add_f32 v[6:7], v[80:81], v[78:79]
	v_pk_add_f32 v[12:13], v[76:77], v[78:79] neg_lo:[0,1] neg_hi:[0,1]
	v_pk_fma_f32 v[6:7], v[6:7], 0.5, v[8:9] op_sel_hi:[1,0,1] neg_lo:[1,0,0] neg_hi:[1,0,0]
	v_pk_add_f32 v[8:9], v[82:83], v[80:81] neg_lo:[0,1] neg_hi:[0,1]
	v_pk_mul_f32 v[10:11], v[10:11], s[4:5] op_sel_hi:[1,0]
	v_pk_add_f32 v[8:9], v[8:9], v[12:13]
	v_pk_mul_f32 v[12:13], v[40:41], s[2:3] op_sel_hi:[1,0]
	v_pk_fma_f32 v[50:51], v[52:53], s[0:1], v[50:51] op_sel_hi:[1,0,1]
	v_pk_add_f32 v[40:41], v[6:7], v[12:13] op_sel:[0,1] op_sel_hi:[1,0]
	v_pk_add_f32 v[6:7], v[6:7], v[12:13] op_sel:[0,1] op_sel_hi:[1,0] neg_lo:[0,1] neg_hi:[0,1]
	v_pk_add_f32 v[52:53], v[34:35], v[38:39] neg_lo:[0,1] neg_hi:[0,1]
	v_pk_add_f32 v[6:7], v[6:7], v[10:11] op_sel:[0,1] op_sel_hi:[1,0]
	v_pk_add_f32 v[10:11], v[40:41], v[10:11] op_sel:[0,1] op_sel_hi:[1,0] neg_lo:[0,1] neg_hi:[0,1]
	v_mov_b32_e32 v13, v7
	v_mov_b32_e32 v7, v11
	;; [unrolled: 1-line block ×3, first 2 shown]
	v_pk_fma_f32 v[6:7], v[8:9], s[0:1], v[6:7] op_sel_hi:[1,0,1]
	v_pk_fma_f32 v[12:13], v[8:9], s[0:1], v[12:13] op_sel_hi:[1,0,1]
	ds_write_b64 v182, v[6:7] offset:10752
	ds_write_b64 v182, v[12:13] offset:7616
	v_pk_add_f32 v[6:7], v[38:39], v[68:69]
	v_pk_add_f32 v[8:9], v[34:35], v[70:71] neg_lo:[0,1] neg_hi:[0,1]
	v_pk_fma_f32 v[6:7], v[6:7], 0.5, v[2:3] op_sel_hi:[1,0,1] neg_lo:[1,0,0] neg_hi:[1,0,0]
	v_pk_mul_f32 v[10:11], v[8:9], s[2:3] op_sel_hi:[1,0]
	v_pk_add_f32 v[12:13], v[38:39], v[68:69] neg_lo:[0,1] neg_hi:[0,1]
	v_pk_add_f32 v[54:55], v[70:71], v[68:69] neg_lo:[0,1] neg_hi:[0,1]
	v_pk_mul_f32 v[40:41], v[12:13], s[4:5] op_sel_hi:[1,0]
	v_pk_add_f32 v[52:53], v[52:53], v[54:55]
	v_pk_add_f32 v[54:55], v[6:7], v[10:11] op_sel:[0,1] op_sel_hi:[1,0] neg_lo:[0,1] neg_hi:[0,1]
	v_pk_add_f32 v[6:7], v[6:7], v[10:11] op_sel:[0,1] op_sel_hi:[1,0]
	v_pk_add_f32 v[10:11], v[54:55], v[40:41] op_sel:[0,1] op_sel_hi:[1,0] neg_lo:[0,1] neg_hi:[0,1]
	v_pk_add_f32 v[6:7], v[6:7], v[40:41] op_sel:[0,1] op_sel_hi:[1,0]
	v_mov_b32_e32 v40, v10
	v_mov_b32_e32 v41, v7
	v_pk_fma_f32 v[40:41], v[52:53], s[0:1], v[40:41] op_sel_hi:[1,0,1]
	ds_write2_b64 v43, v[50:51], v[40:41] offset0:48 offset1:104
	v_pk_add_f32 v[40:41], v[34:35], v[70:71]
	v_pk_add_f32 v[34:35], v[38:39], v[34:35] neg_lo:[0,1] neg_hi:[0,1]
	v_pk_fma_f32 v[2:3], v[40:41], 0.5, v[2:3] op_sel_hi:[1,0,1] neg_lo:[1,0,0] neg_hi:[1,0,0]
	v_pk_add_f32 v[38:39], v[68:69], v[70:71] neg_lo:[0,1] neg_hi:[0,1]
	v_pk_mul_f32 v[12:13], v[12:13], s[2:3] op_sel_hi:[1,0]
	v_pk_add_f32 v[34:35], v[34:35], v[38:39]
	v_pk_mul_f32 v[8:9], v[8:9], s[4:5] op_sel_hi:[1,0]
	v_pk_add_f32 v[38:39], v[2:3], v[12:13] op_sel:[0,1] op_sel_hi:[1,0]
	v_pk_add_f32 v[2:3], v[2:3], v[12:13] op_sel:[0,1] op_sel_hi:[1,0] neg_lo:[0,1] neg_hi:[0,1]
	v_mov_b32_e32 v7, v11
	v_pk_add_f32 v[2:3], v[2:3], v[8:9] op_sel:[0,1] op_sel_hi:[1,0]
	v_pk_add_f32 v[8:9], v[38:39], v[8:9] op_sel:[0,1] op_sel_hi:[1,0] neg_lo:[0,1] neg_hi:[0,1]
	v_mov_b32_e32 v13, v3
	v_mov_b32_e32 v3, v9
	v_pk_fma_f32 v[2:3], v[34:35], s[0:1], v[2:3] op_sel_hi:[1,0,1]
	ds_write_b64 v182, v[2:3] offset:11200
	v_pk_fma_f32 v[2:3], v[52:53], s[0:1], v[6:7] op_sel_hi:[1,0,1]
	ds_write_b64 v182, v[2:3] offset:14336
	ds_write2_b64 v137, v[44:45], v[46:47] offset0:96 offset1:152
	v_pk_add_f32 v[2:3], v[30:31], v[32:33]
	v_pk_add_f32 v[6:7], v[26:27], v[36:37] neg_lo:[0,1] neg_hi:[0,1]
	v_mov_b32_e32 v12, v8
	v_pk_fma_f32 v[2:3], v[2:3], 0.5, v[4:5] op_sel_hi:[1,0,1] neg_lo:[1,0,0] neg_hi:[1,0,0]
	v_pk_mul_f32 v[8:9], v[6:7], s[2:3] op_sel_hi:[1,0]
	v_pk_add_f32 v[10:11], v[30:31], v[32:33] neg_lo:[0,1] neg_hi:[0,1]
	v_pk_add_f32 v[38:39], v[26:27], v[30:31] neg_lo:[0,1] neg_hi:[0,1]
	;; [unrolled: 1-line block ×3, first 2 shown]
	v_pk_fma_f32 v[12:13], v[34:35], s[0:1], v[12:13] op_sel_hi:[1,0,1]
	v_pk_mul_f32 v[34:35], v[10:11], s[4:5] op_sel_hi:[1,0]
	v_pk_add_f32 v[38:39], v[38:39], v[40:41]
	v_pk_add_f32 v[40:41], v[2:3], v[8:9] op_sel:[0,1] op_sel_hi:[1,0] neg_lo:[0,1] neg_hi:[0,1]
	v_pk_add_f32 v[2:3], v[2:3], v[8:9] op_sel:[0,1] op_sel_hi:[1,0]
	v_pk_add_f32 v[8:9], v[40:41], v[34:35] op_sel:[0,1] op_sel_hi:[1,0] neg_lo:[0,1] neg_hi:[0,1]
	v_pk_add_f32 v[2:3], v[2:3], v[34:35] op_sel:[0,1] op_sel_hi:[1,0]
	v_mov_b32_e32 v34, v8
	v_mov_b32_e32 v35, v3
	v_pk_fma_f32 v[34:35], v[38:39], s[0:1], v[34:35] op_sel_hi:[1,0,1]
	ds_write_b64 v182, v[34:35] offset:5376
	v_pk_add_f32 v[34:35], v[26:27], v[36:37]
	v_pk_add_f32 v[26:27], v[30:31], v[26:27] neg_lo:[0,1] neg_hi:[0,1]
	v_pk_fma_f32 v[4:5], v[34:35], 0.5, v[4:5] op_sel_hi:[1,0,1] neg_lo:[1,0,0] neg_hi:[1,0,0]
	v_pk_add_f32 v[30:31], v[32:33], v[36:37] neg_lo:[0,1] neg_hi:[0,1]
	v_pk_mul_f32 v[10:11], v[10:11], s[2:3] op_sel_hi:[1,0]
	v_pk_add_f32 v[26:27], v[26:27], v[30:31]
	v_pk_mul_f32 v[6:7], v[6:7], s[4:5] op_sel_hi:[1,0]
	v_pk_add_f32 v[30:31], v[4:5], v[10:11] op_sel:[0,1] op_sel_hi:[1,0]
	v_pk_add_f32 v[4:5], v[4:5], v[10:11] op_sel:[0,1] op_sel_hi:[1,0] neg_lo:[0,1] neg_hi:[0,1]
	v_mov_b32_e32 v29, v49
	v_pk_add_f32 v[48:49], v[0:1], v[20:21]
	v_pk_add_f32 v[4:5], v[4:5], v[6:7] op_sel:[0,1] op_sel_hi:[1,0]
	v_pk_add_f32 v[6:7], v[30:31], v[6:7] op_sel:[0,1] op_sel_hi:[1,0] neg_lo:[0,1] neg_hi:[0,1]
	v_pk_add_f32 v[48:49], v[48:49], v[22:23]
	v_mov_b32_e32 v10, v6
	v_mov_b32_e32 v11, v5
	v_mov_b32_e32 v5, v7
	v_mov_b32_e32 v3, v9
	v_pk_add_f32 v[48:49], v[48:49], v[24:25]
	v_pk_fma_f32 v[10:11], v[26:27], s[0:1], v[10:11] op_sel_hi:[1,0,1]
	v_pk_fma_f32 v[4:5], v[26:27], s[0:1], v[4:5] op_sel_hi:[1,0,1]
	;; [unrolled: 1-line block ×3, first 2 shown]
	v_pk_add_f32 v[48:49], v[48:49], v[28:29]
	ds_write2_b64 v119, v[12:13], v[10:11] offset0:112 offset1:168
	ds_write_b64 v182, v[4:5] offset:11648
	ds_write_b64 v182, v[2:3] offset:14784
	ds_write2_b64 v144, v[48:49], v[62:63] offset0:80 offset1:136
	v_pk_add_f32 v[2:3], v[22:23], v[24:25]
	v_pk_add_f32 v[4:5], v[20:21], v[28:29] neg_lo:[0,1] neg_hi:[0,1]
	v_pk_fma_f32 v[2:3], v[2:3], 0.5, v[0:1] op_sel_hi:[1,0,1] neg_lo:[1,0,0] neg_hi:[1,0,0]
	v_pk_mul_f32 v[6:7], v[4:5], s[2:3] op_sel_hi:[1,0]
	v_pk_add_f32 v[8:9], v[22:23], v[24:25] neg_lo:[0,1] neg_hi:[0,1]
	v_pk_add_f32 v[12:13], v[20:21], v[22:23] neg_lo:[0,1] neg_hi:[0,1]
	;; [unrolled: 1-line block ×3, first 2 shown]
	v_pk_mul_f32 v[10:11], v[8:9], s[4:5] op_sel_hi:[1,0]
	v_pk_add_f32 v[12:13], v[12:13], v[26:27]
	v_pk_add_f32 v[26:27], v[2:3], v[6:7] op_sel:[0,1] op_sel_hi:[1,0] neg_lo:[0,1] neg_hi:[0,1]
	v_pk_add_f32 v[2:3], v[2:3], v[6:7] op_sel:[0,1] op_sel_hi:[1,0]
	v_pk_add_f32 v[6:7], v[26:27], v[10:11] op_sel:[0,1] op_sel_hi:[1,0] neg_lo:[0,1] neg_hi:[0,1]
	v_pk_add_f32 v[2:3], v[2:3], v[10:11] op_sel:[0,1] op_sel_hi:[1,0]
	v_mov_b32_e32 v10, v6
	v_mov_b32_e32 v11, v3
	v_pk_fma_f32 v[10:11], v[12:13], s[0:1], v[10:11] op_sel_hi:[1,0,1]
	ds_write_b64 v182, v[10:11] offset:5824
	v_pk_add_f32 v[10:11], v[20:21], v[28:29]
	v_pk_mul_f32 v[8:9], v[8:9], s[2:3] op_sel_hi:[1,0]
	v_pk_fma_f32 v[0:1], v[10:11], 0.5, v[0:1] op_sel_hi:[1,0,1] neg_lo:[1,0,0] neg_hi:[1,0,0]
	v_pk_add_f32 v[10:11], v[22:23], v[20:21] neg_lo:[0,1] neg_hi:[0,1]
	v_pk_add_f32 v[20:21], v[24:25], v[28:29] neg_lo:[0,1] neg_hi:[0,1]
	v_pk_mul_f32 v[4:5], v[4:5], s[4:5] op_sel_hi:[1,0]
	v_pk_add_f32 v[10:11], v[10:11], v[20:21]
	v_pk_add_f32 v[20:21], v[0:1], v[8:9] op_sel:[0,1] op_sel_hi:[1,0]
	v_pk_add_f32 v[0:1], v[0:1], v[8:9] op_sel:[0,1] op_sel_hi:[1,0] neg_lo:[0,1] neg_hi:[0,1]
	v_mov_b32_e32 v3, v7
	v_pk_add_f32 v[0:1], v[0:1], v[4:5] op_sel:[0,1] op_sel_hi:[1,0]
	v_pk_add_f32 v[4:5], v[20:21], v[4:5] op_sel:[0,1] op_sel_hi:[1,0] neg_lo:[0,1] neg_hi:[0,1]
	v_mov_b32_e32 v9, v1
	v_mov_b32_e32 v1, v5
	;; [unrolled: 1-line block ×3, first 2 shown]
	v_pk_fma_f32 v[0:1], v[10:11], s[0:1], v[0:1] op_sel_hi:[1,0,1]
	v_pk_fma_f32 v[8:9], v[10:11], s[0:1], v[8:9] op_sel_hi:[1,0,1]
	ds_write_b64 v182, v[0:1] offset:12096
	v_pk_fma_f32 v[0:1], v[12:13], s[0:1], v[2:3] op_sel_hi:[1,0,1]
	ds_write_b64 v182, v[8:9] offset:8960
	ds_write_b64 v182, v[0:1] offset:15232
	s_waitcnt lgkmcnt(0)
	; wave barrier
	s_waitcnt lgkmcnt(0)
	ds_read2_b64 v[0:3], v182 offset1:56
	v_accvgpr_read_b32 v6, a46
	v_accvgpr_read_b32 v7, a47
	s_mov_b32 s0, 0xec259dc8
	s_mov_b32 s1, 0x3f40b7e6
	s_waitcnt lgkmcnt(0)
	v_mul_f32_e32 v4, v7, v1
	v_fmac_f32_e32 v4, v6, v0
	v_cvt_f64_f32_e32 v[4:5], v4
	v_mul_f32_e32 v0, v7, v0
	v_mul_f64 v[4:5], v[4:5], s[0:1]
	v_fma_f32 v0, v6, v1, -v0
	v_cvt_f32_f64_e32 v8, v[4:5]
	v_cvt_f64_f32_e32 v[0:1], v0
	v_accvgpr_read_b32 v4, a20
	v_mul_f64 v[0:1], v[0:1], s[0:1]
	v_mad_u64_u32 v[10:11], s[2:3], s8, v4, 0
	v_cvt_f32_f64_e32 v9, v[0:1]
	v_mov_b32_e32 v0, v11
	v_mad_u64_u32 v[0:1], s[2:3], s9, v4, v[0:1]
	v_add_u32_e32 v1, 0xc00, v182
	ds_read2_b64 v[4:7], v1 offset0:106 offset1:162
	v_mov_b32_e32 v11, v0
	v_lshl_add_u64 v[0:1], v[16:17], 3, v[14:15]
	v_lshl_add_u64 v[12:13], v[10:11], 3, v[0:1]
	v_accvgpr_read_b32 v10, a44
	v_accvgpr_read_b32 v11, a45
	global_store_dwordx2 v[12:13], v[8:9], off
	s_waitcnt lgkmcnt(0)
	v_mul_f32_e32 v8, v11, v5
	v_fmac_f32_e32 v8, v10, v4
	v_cvt_f64_f32_e32 v[8:9], v8
	v_mul_f32_e32 v4, v11, v4
	v_mul_f64 v[8:9], v[8:9], s[0:1]
	v_fma_f32 v4, v10, v5, -v4
	s_mul_i32 s2, s9, 0x1ea
	s_mul_hi_u32 s3, s8, 0x1ea
	v_cvt_f32_f64_e32 v14, v[8:9]
	v_cvt_f64_f32_e32 v[4:5], v4
	s_add_i32 s3, s3, s2
	ds_read2_b64 v[8:11], v119 offset0:84 offset1:140
	s_mul_i32 s2, s8, 0x1ea
	v_mul_f64 v[4:5], v[4:5], s[0:1]
	s_lshl_b64 s[2:3], s[2:3], 3
	v_cvt_f32_f64_e32 v15, v[4:5]
	v_lshl_add_u64 v[4:5], v[12:13], 0, s[2:3]
	global_store_dwordx2 v[4:5], v[14:15], off
	v_accvgpr_read_b32 v14, a42
	v_accvgpr_read_b32 v15, a43
	s_waitcnt lgkmcnt(0)
	v_mul_f32_e32 v12, v15, v9
	v_fmac_f32_e32 v12, v14, v8
	v_cvt_f64_f32_e32 v[12:13], v12
	v_mul_f32_e32 v8, v15, v8
	v_mul_f64 v[12:13], v[12:13], s[0:1]
	v_fma_f32 v8, v14, v9, -v8
	v_cvt_f32_f64_e32 v16, v[12:13]
	v_cvt_f64_f32_e32 v[8:9], v8
	ds_read2_b64 v[12:15], v143 offset0:190 offset1:246
	v_mul_f64 v[8:9], v[8:9], s[0:1]
	v_cvt_f32_f64_e32 v17, v[8:9]
	v_lshl_add_u64 v[4:5], v[4:5], 0, s[2:3]
	global_store_dwordx2 v[4:5], v[16:17], off
	v_accvgpr_read_b32 v16, a38
	v_accvgpr_read_b32 v17, a39
	s_waitcnt lgkmcnt(0)
	v_mul_f32_e32 v8, v17, v13
	v_fmac_f32_e32 v8, v16, v12
	v_cvt_f64_f32_e32 v[8:9], v8
	v_mul_f64 v[8:9], v[8:9], s[0:1]
	v_cvt_f32_f64_e32 v8, v[8:9]
	v_mul_f32_e32 v9, v17, v12
	v_fma_f32 v9, v16, v13, -v9
	v_cvt_f64_f32_e32 v[12:13], v9
	v_mul_f64 v[12:13], v[12:13], s[0:1]
	v_cvt_f32_f64_e32 v9, v[12:13]
	v_accvgpr_read_b32 v12, a40
	v_lshl_add_u64 v[4:5], v[4:5], 0, s[2:3]
	v_accvgpr_read_b32 v13, a41
	global_store_dwordx2 v[4:5], v[8:9], off
	v_mul_f32_e32 v8, v13, v3
	v_fmac_f32_e32 v8, v12, v2
	v_mul_f32_e32 v2, v13, v2
	v_fma_f32 v2, v12, v3, -v2
	v_cvt_f64_f32_e32 v[8:9], v8
	v_cvt_f64_f32_e32 v[2:3], v2
	v_mul_f64 v[8:9], v[8:9], s[0:1]
	v_mul_f64 v[2:3], v[2:3], s[0:1]
	v_cvt_f32_f64_e32 v8, v[8:9]
	v_cvt_f32_f64_e32 v9, v[2:3]
	v_mad_u64_u32 v[2:3], s[12:13], s8, v18, v[4:5]
	v_add_u32_e32 v3, s11, v3
	global_store_dwordx2 v[2:3], v[8:9], off
	v_accvgpr_read_b32 v8, a34
	v_accvgpr_read_b32 v9, a35
	v_mul_f32_e32 v4, v9, v7
	v_fmac_f32_e32 v4, v8, v6
	v_cvt_f64_f32_e32 v[4:5], v4
	v_mul_f64 v[4:5], v[4:5], s[0:1]
	v_cvt_f32_f64_e32 v4, v[4:5]
	v_mul_f32_e32 v5, v9, v6
	v_fma_f32 v5, v8, v7, -v5
	v_cvt_f64_f32_e32 v[6:7], v5
	v_mul_f64 v[6:7], v[6:7], s[0:1]
	v_cvt_f32_f64_e32 v5, v[6:7]
	v_accvgpr_read_b32 v6, a28
	v_lshl_add_u64 v[2:3], v[2:3], 0, s[2:3]
	v_accvgpr_read_b32 v7, a29
	global_store_dwordx2 v[2:3], v[4:5], off
	v_mul_f32_e32 v4, v7, v11
	v_fmac_f32_e32 v4, v6, v10
	v_cvt_f64_f32_e32 v[4:5], v4
	v_mul_f64 v[4:5], v[4:5], s[0:1]
	v_cvt_f32_f64_e32 v4, v[4:5]
	v_mul_f32_e32 v5, v7, v10
	v_fma_f32 v5, v6, v11, -v5
	v_cvt_f64_f32_e32 v[6:7], v5
	v_mul_f64 v[6:7], v[6:7], s[0:1]
	v_cvt_f32_f64_e32 v5, v[6:7]
	v_lshl_add_u64 v[6:7], v[2:3], 0, s[2:3]
	global_store_dwordx2 v[6:7], v[4:5], off
	v_accvgpr_read_b32 v4, a26
	v_accvgpr_read_b32 v5, a27
	v_mul_f32_e32 v2, v5, v15
	v_fmac_f32_e32 v2, v4, v14
	v_cvt_f64_f32_e32 v[2:3], v2
	v_mul_f64 v[2:3], v[2:3], s[0:1]
	v_cvt_f32_f64_e32 v8, v[2:3]
	v_mul_f32_e32 v2, v5, v14
	v_fma_f32 v2, v4, v15, -v2
	v_cvt_f64_f32_e32 v[10:11], v2
	ds_read2_b64 v[2:5], v182 offset0:112 offset1:168
	v_mul_f64 v[10:11], v[10:11], s[0:1]
	v_cvt_f32_f64_e32 v9, v[10:11]
	v_lshl_add_u64 v[10:11], v[6:7], 0, s[2:3]
	global_store_dwordx2 v[10:11], v[8:9], off
	v_accvgpr_read_b32 v8, a22
	v_accvgpr_read_b32 v9, a23
	s_waitcnt lgkmcnt(0)
	v_mul_f32_e32 v6, v9, v3
	v_fmac_f32_e32 v6, v8, v2
	v_mul_f32_e32 v2, v9, v2
	v_cvt_f64_f32_e32 v[6:7], v6
	v_fma_f32 v2, v8, v3, -v2
	v_mul_f64 v[6:7], v[6:7], s[0:1]
	v_cvt_f64_f32_e32 v[2:3], v2
	v_cvt_f32_f64_e32 v12, v[6:7]
	v_mul_f64 v[2:3], v[2:3], s[0:1]
	ds_read2_b64 v[6:9], v43 offset0:90 offset1:146
	v_cvt_f32_f64_e32 v13, v[2:3]
	v_mad_u64_u32 v[2:3], s[12:13], s8, v18, v[10:11]
	v_add_u32_e32 v3, s11, v3
	global_store_dwordx2 v[2:3], v[12:13], off
	v_accvgpr_read_b32 v12, a18
	v_accvgpr_read_b32 v13, a19
	s_waitcnt lgkmcnt(0)
	v_mul_f32_e32 v10, v13, v7
	v_fmac_f32_e32 v10, v12, v6
	v_cvt_f64_f32_e32 v[10:11], v10
	v_mul_f32_e32 v6, v13, v6
	v_mul_f64 v[10:11], v[10:11], s[0:1]
	v_fma_f32 v6, v12, v7, -v6
	v_cvt_f32_f64_e32 v14, v[10:11]
	v_cvt_f64_f32_e32 v[6:7], v6
	ds_read2_b64 v[10:13], v145 offset0:68 offset1:124
	v_mul_f64 v[6:7], v[6:7], s[0:1]
	v_cvt_f32_f64_e32 v15, v[6:7]
	v_lshl_add_u64 v[2:3], v[2:3], 0, s[2:3]
	global_store_dwordx2 v[2:3], v[14:15], off
	v_accvgpr_read_b32 v14, a36
	v_accvgpr_read_b32 v15, a37
	s_waitcnt lgkmcnt(0)
	v_mul_f32_e32 v6, v15, v11
	v_fmac_f32_e32 v6, v14, v10
	v_cvt_f64_f32_e32 v[6:7], v6
	v_mul_f64 v[6:7], v[6:7], s[0:1]
	v_cvt_f32_f64_e32 v6, v[6:7]
	v_mul_f32_e32 v7, v15, v10
	v_fma_f32 v7, v14, v11, -v7
	ds_read2_b64 v[14:17], v136 offset0:46 offset1:102
	v_cvt_f64_f32_e32 v[10:11], v7
	v_mul_f64 v[10:11], v[10:11], s[0:1]
	v_cvt_f32_f64_e32 v7, v[10:11]
	v_accvgpr_read_b32 v10, a68
	v_lshl_add_u64 v[2:3], v[2:3], 0, s[2:3]
	v_accvgpr_read_b32 v11, a69
	global_store_dwordx2 v[2:3], v[6:7], off
	s_waitcnt lgkmcnt(0)
	v_mul_f32_e32 v6, v11, v15
	v_fmac_f32_e32 v6, v10, v14
	v_cvt_f64_f32_e32 v[6:7], v6
	v_mul_f64 v[6:7], v[6:7], s[0:1]
	v_cvt_f32_f64_e32 v6, v[6:7]
	v_mul_f32_e32 v7, v11, v14
	v_fma_f32 v7, v10, v15, -v7
	v_cvt_f64_f32_e32 v[10:11], v7
	v_mul_f64 v[10:11], v[10:11], s[0:1]
	v_cvt_f32_f64_e32 v7, v[10:11]
	v_accvgpr_read_b32 v10, a12
	v_lshl_add_u64 v[2:3], v[2:3], 0, s[2:3]
	v_accvgpr_read_b32 v11, a13
	global_store_dwordx2 v[2:3], v[6:7], off
	v_mul_f32_e32 v6, v11, v5
	v_fmac_f32_e32 v6, v10, v4
	v_mul_f32_e32 v4, v11, v4
	v_fma_f32 v4, v10, v5, -v4
	v_cvt_f64_f32_e32 v[6:7], v6
	v_cvt_f64_f32_e32 v[4:5], v4
	v_mul_f64 v[6:7], v[6:7], s[0:1]
	v_mul_f64 v[4:5], v[4:5], s[0:1]
	v_mad_u64_u32 v[2:3], s[12:13], s8, v18, v[2:3]
	v_cvt_f32_f64_e32 v6, v[6:7]
	v_cvt_f32_f64_e32 v7, v[4:5]
	v_add_u32_e32 v3, s11, v3
	global_store_dwordx2 v[2:3], v[6:7], off
	v_accvgpr_read_b32 v6, a66
	v_accvgpr_read_b32 v7, a67
	v_mul_f32_e32 v4, v7, v9
	v_fmac_f32_e32 v4, v6, v8
	v_cvt_f64_f32_e32 v[4:5], v4
	v_mul_f64 v[4:5], v[4:5], s[0:1]
	v_cvt_f32_f64_e32 v4, v[4:5]
	v_mul_f32_e32 v5, v7, v8
	v_fma_f32 v5, v6, v9, -v5
	v_cvt_f64_f32_e32 v[6:7], v5
	v_mul_f64 v[6:7], v[6:7], s[0:1]
	v_cvt_f32_f64_e32 v5, v[6:7]
	v_accvgpr_read_b32 v6, a62
	v_lshl_add_u64 v[2:3], v[2:3], 0, s[2:3]
	v_accvgpr_read_b32 v7, a63
	global_store_dwordx2 v[2:3], v[4:5], off
	v_mul_f32_e32 v4, v7, v13
	v_fmac_f32_e32 v4, v6, v12
	v_cvt_f64_f32_e32 v[4:5], v4
	v_mul_f64 v[4:5], v[4:5], s[0:1]
	v_cvt_f32_f64_e32 v4, v[4:5]
	v_mul_f32_e32 v5, v7, v12
	v_fma_f32 v5, v6, v13, -v5
	v_cvt_f64_f32_e32 v[6:7], v5
	v_mul_f64 v[6:7], v[6:7], s[0:1]
	v_cvt_f32_f64_e32 v5, v[6:7]
	v_lshl_add_u64 v[6:7], v[2:3], 0, s[2:3]
	global_store_dwordx2 v[6:7], v[4:5], off
	v_accvgpr_read_b32 v4, a64
	v_accvgpr_read_b32 v5, a65
	v_mul_f32_e32 v2, v5, v17
	v_fmac_f32_e32 v2, v4, v16
	v_cvt_f64_f32_e32 v[2:3], v2
	v_mul_f64 v[2:3], v[2:3], s[0:1]
	v_cvt_f32_f64_e32 v8, v[2:3]
	v_mul_f32_e32 v2, v5, v16
	v_fma_f32 v2, v4, v17, -v2
	v_cvt_f64_f32_e32 v[10:11], v2
	ds_read2_b64 v[2:5], v137 offset0:96 offset1:152
	v_mul_f64 v[10:11], v[10:11], s[0:1]
	v_cvt_f32_f64_e32 v9, v[10:11]
	v_lshl_add_u64 v[10:11], v[6:7], 0, s[2:3]
	global_store_dwordx2 v[10:11], v[8:9], off
	v_accvgpr_read_b32 v8, a60
	v_accvgpr_read_b32 v9, a61
	s_waitcnt lgkmcnt(0)
	v_mul_f32_e32 v6, v9, v3
	v_fmac_f32_e32 v6, v8, v2
	v_mul_f32_e32 v2, v9, v2
	v_fma_f32 v2, v8, v3, -v2
	v_cvt_f64_f32_e32 v[2:3], v2
	v_cvt_f64_f32_e32 v[6:7], v6
	v_mul_f64 v[2:3], v[2:3], s[0:1]
	v_mul_f64 v[6:7], v[6:7], s[0:1]
	v_cvt_f32_f64_e32 v13, v[2:3]
	v_add_u32_e32 v2, 0x1400, v182
	v_cvt_f32_f64_e32 v12, v[6:7]
	ds_read2_b64 v[6:9], v2 offset0:74 offset1:130
	v_mad_u64_u32 v[2:3], s[12:13], s8, v18, v[10:11]
	v_add_u32_e32 v3, s11, v3
	global_store_dwordx2 v[2:3], v[12:13], off
	v_accvgpr_read_b32 v12, a58
	v_accvgpr_read_b32 v13, a59
	s_waitcnt lgkmcnt(0)
	v_mul_f32_e32 v10, v13, v7
	v_fmac_f32_e32 v10, v12, v6
	v_cvt_f64_f32_e32 v[10:11], v10
	v_mul_f32_e32 v6, v13, v6
	v_mul_f64 v[10:11], v[10:11], s[0:1]
	v_fma_f32 v6, v12, v7, -v6
	v_cvt_f32_f64_e32 v14, v[10:11]
	v_cvt_f64_f32_e32 v[6:7], v6
	ds_read2_b64 v[10:13], v145 offset0:180 offset1:236
	v_mul_f64 v[6:7], v[6:7], s[0:1]
	v_cvt_f32_f64_e32 v15, v[6:7]
	v_lshl_add_u64 v[2:3], v[2:3], 0, s[2:3]
	global_store_dwordx2 v[2:3], v[14:15], off
	v_accvgpr_read_b32 v14, a52
	v_accvgpr_read_b32 v15, a53
	s_waitcnt lgkmcnt(0)
	v_mul_f32_e32 v6, v15, v11
	v_fmac_f32_e32 v6, v14, v10
	v_cvt_f64_f32_e32 v[6:7], v6
	v_mul_f64 v[6:7], v[6:7], s[0:1]
	v_cvt_f32_f64_e32 v6, v[6:7]
	v_mul_f32_e32 v7, v15, v10
	v_fma_f32 v7, v14, v11, -v7
	ds_read2_b64 v[14:17], v136 offset0:158 offset1:214
	v_cvt_f64_f32_e32 v[10:11], v7
	v_mul_f64 v[10:11], v[10:11], s[0:1]
	v_cvt_f32_f64_e32 v7, v[10:11]
	v_accvgpr_read_b32 v10, a56
	v_lshl_add_u64 v[2:3], v[2:3], 0, s[2:3]
	v_accvgpr_read_b32 v11, a57
	global_store_dwordx2 v[2:3], v[6:7], off
	s_waitcnt lgkmcnt(0)
	v_mul_f32_e32 v6, v11, v15
	v_fmac_f32_e32 v6, v10, v14
	v_cvt_f64_f32_e32 v[6:7], v6
	v_mul_f64 v[6:7], v[6:7], s[0:1]
	v_cvt_f32_f64_e32 v6, v[6:7]
	v_mul_f32_e32 v7, v11, v14
	v_fma_f32 v7, v10, v15, -v7
	v_cvt_f64_f32_e32 v[10:11], v7
	v_mul_f64 v[10:11], v[10:11], s[0:1]
	v_cvt_f32_f64_e32 v7, v[10:11]
	v_accvgpr_read_b32 v10, a54
	v_lshl_add_u64 v[2:3], v[2:3], 0, s[2:3]
	v_accvgpr_read_b32 v11, a55
	global_store_dwordx2 v[2:3], v[6:7], off
	v_mul_f32_e32 v6, v11, v5
	v_fmac_f32_e32 v6, v10, v4
	v_mul_f32_e32 v4, v11, v4
	v_fma_f32 v4, v10, v5, -v4
	v_cvt_f64_f32_e32 v[6:7], v6
	v_cvt_f64_f32_e32 v[4:5], v4
	v_mul_f64 v[6:7], v[6:7], s[0:1]
	v_mul_f64 v[4:5], v[4:5], s[0:1]
	v_mad_u64_u32 v[2:3], s[12:13], s8, v18, v[2:3]
	v_cvt_f32_f64_e32 v6, v[6:7]
	v_cvt_f32_f64_e32 v7, v[4:5]
	v_add_u32_e32 v3, s11, v3
	global_store_dwordx2 v[2:3], v[6:7], off
	v_accvgpr_read_b32 v6, a8
	v_accvgpr_read_b32 v7, a9
	v_mul_f32_e32 v4, v7, v9
	v_fmac_f32_e32 v4, v6, v8
	v_cvt_f64_f32_e32 v[4:5], v4
	v_mul_f64 v[4:5], v[4:5], s[0:1]
	v_cvt_f32_f64_e32 v4, v[4:5]
	v_mul_f32_e32 v5, v7, v8
	v_fma_f32 v5, v6, v9, -v5
	v_cvt_f64_f32_e32 v[6:7], v5
	v_mul_f64 v[6:7], v[6:7], s[0:1]
	v_cvt_f32_f64_e32 v5, v[6:7]
	v_accvgpr_read_b32 v6, a30
	v_lshl_add_u64 v[2:3], v[2:3], 0, s[2:3]
	v_accvgpr_read_b32 v7, a31
	global_store_dwordx2 v[2:3], v[4:5], off
	v_mul_f32_e32 v4, v7, v13
	v_fmac_f32_e32 v4, v6, v12
	v_cvt_f64_f32_e32 v[4:5], v4
	v_mul_f64 v[4:5], v[4:5], s[0:1]
	v_cvt_f32_f64_e32 v4, v[4:5]
	v_mul_f32_e32 v5, v7, v12
	v_fma_f32 v5, v6, v13, -v5
	v_cvt_f64_f32_e32 v[6:7], v5
	v_mul_f64 v[6:7], v[6:7], s[0:1]
	v_cvt_f32_f64_e32 v5, v[6:7]
	v_lshl_add_u64 v[6:7], v[2:3], 0, s[2:3]
	global_store_dwordx2 v[6:7], v[4:5], off
	v_accvgpr_read_b32 v4, a50
	v_accvgpr_read_b32 v5, a51
	v_mul_f32_e32 v2, v5, v17
	v_fmac_f32_e32 v2, v4, v16
	v_cvt_f64_f32_e32 v[2:3], v2
	v_mul_f64 v[2:3], v[2:3], s[0:1]
	v_cvt_f32_f64_e32 v8, v[2:3]
	v_mul_f32_e32 v2, v5, v16
	v_fma_f32 v2, v4, v17, -v2
	v_cvt_f64_f32_e32 v[10:11], v2
	ds_read2_b64 v[2:5], v144 offset0:80 offset1:136
	v_mul_f64 v[10:11], v[10:11], s[0:1]
	v_cvt_f32_f64_e32 v9, v[10:11]
	v_lshl_add_u64 v[10:11], v[6:7], 0, s[2:3]
	global_store_dwordx2 v[10:11], v[8:9], off
	v_accvgpr_read_b32 v8, a48
	v_accvgpr_read_b32 v9, a49
	s_waitcnt lgkmcnt(0)
	v_mul_f32_e32 v6, v9, v3
	v_fmac_f32_e32 v6, v8, v2
	v_cvt_f64_f32_e32 v[6:7], v6
	v_mul_f32_e32 v2, v9, v2
	v_mul_f64 v[6:7], v[6:7], s[0:1]
	v_fma_f32 v2, v8, v3, -v2
	v_cvt_f32_f64_e32 v12, v[6:7]
	v_cvt_f64_f32_e32 v[2:3], v2
	ds_read2_b64 v[6:9], v142 offset0:58 offset1:114
	v_mul_f64 v[2:3], v[2:3], s[0:1]
	v_cvt_f32_f64_e32 v13, v[2:3]
	v_mad_u64_u32 v[2:3], s[12:13], s8, v18, v[10:11]
	v_add_u32_e32 v3, s11, v3
	global_store_dwordx2 v[2:3], v[12:13], off
	v_accvgpr_read_b32 v13, a7
	v_accvgpr_read_b32 v12, a6
	s_waitcnt lgkmcnt(0)
	v_mul_f32_e32 v10, v13, v7
	v_fmac_f32_e32 v10, v12, v6
	v_cvt_f64_f32_e32 v[10:11], v10
	v_mul_f64 v[10:11], v[10:11], s[0:1]
	v_mul_f32_e32 v6, v13, v6
	v_cvt_f32_f64_e32 v14, v[10:11]
	v_fma_f32 v6, v12, v7, -v6
	ds_read2_b64 v[10:13], v143 offset0:36 offset1:92
	v_cvt_f64_f32_e32 v[6:7], v6
	v_mul_f64 v[6:7], v[6:7], s[0:1]
	v_cvt_f32_f64_e32 v15, v[6:7]
	v_lshl_add_u64 v[2:3], v[2:3], 0, s[2:3]
	global_store_dwordx2 v[2:3], v[14:15], off
	v_accvgpr_read_b32 v15, a11
	v_accvgpr_read_b32 v14, a10
	s_waitcnt lgkmcnt(0)
	v_mul_f32_e32 v6, v15, v11
	v_fmac_f32_e32 v6, v14, v10
	v_cvt_f64_f32_e32 v[6:7], v6
	v_mul_f64 v[6:7], v[6:7], s[0:1]
	v_cvt_f32_f64_e32 v6, v[6:7]
	v_mul_f32_e32 v7, v15, v10
	v_fma_f32 v7, v14, v11, -v7
	ds_read2_b64 v[14:17], v118 offset0:14 offset1:70
	v_cvt_f64_f32_e32 v[10:11], v7
	v_mul_f64 v[10:11], v[10:11], s[0:1]
	v_cvt_f32_f64_e32 v7, v[10:11]
	v_accvgpr_read_b32 v10, a32
	v_lshl_add_u64 v[2:3], v[2:3], 0, s[2:3]
	v_accvgpr_read_b32 v11, a33
	global_store_dwordx2 v[2:3], v[6:7], off
	s_waitcnt lgkmcnt(0)
	v_mul_f32_e32 v6, v11, v15
	v_fmac_f32_e32 v6, v10, v14
	v_cvt_f64_f32_e32 v[6:7], v6
	v_mul_f64 v[6:7], v[6:7], s[0:1]
	v_cvt_f32_f64_e32 v6, v[6:7]
	v_mul_f32_e32 v7, v11, v14
	v_fma_f32 v7, v10, v15, -v7
	v_cvt_f64_f32_e32 v[10:11], v7
	v_mul_f64 v[10:11], v[10:11], s[0:1]
	v_cvt_f32_f64_e32 v7, v[10:11]
	v_accvgpr_read_b32 v10, a24
	v_lshl_add_u64 v[2:3], v[2:3], 0, s[2:3]
	v_accvgpr_read_b32 v11, a25
	global_store_dwordx2 v[2:3], v[6:7], off
	v_mul_f32_e32 v6, v11, v5
	v_fmac_f32_e32 v6, v10, v4
	v_mul_f32_e32 v4, v11, v4
	v_fma_f32 v4, v10, v5, -v4
	v_cvt_f64_f32_e32 v[6:7], v6
	v_cvt_f64_f32_e32 v[4:5], v4
	v_mul_f64 v[6:7], v[6:7], s[0:1]
	v_mul_f64 v[4:5], v[4:5], s[0:1]
	v_mad_u64_u32 v[2:3], s[12:13], s8, v18, v[2:3]
	v_cvt_f32_f64_e32 v6, v[6:7]
	v_cvt_f32_f64_e32 v7, v[4:5]
	v_add_u32_e32 v3, s11, v3
	global_store_dwordx2 v[2:3], v[6:7], off
	v_accvgpr_read_b32 v7, a3
	v_accvgpr_read_b32 v6, a2
	v_mul_f32_e32 v4, v7, v9
	v_fmac_f32_e32 v4, v6, v8
	v_cvt_f64_f32_e32 v[4:5], v4
	v_mul_f64 v[4:5], v[4:5], s[0:1]
	v_cvt_f32_f64_e32 v4, v[4:5]
	v_mul_f32_e32 v5, v7, v8
	v_fma_f32 v5, v6, v9, -v5
	v_cvt_f64_f32_e32 v[6:7], v5
	v_mul_f64 v[6:7], v[6:7], s[0:1]
	v_cvt_f32_f64_e32 v5, v[6:7]
	v_lshl_add_u64 v[2:3], v[2:3], 0, s[2:3]
	v_accvgpr_read_b32 v7, a5
	global_store_dwordx2 v[2:3], v[4:5], off
	v_accvgpr_read_b32 v6, a4
	v_mul_f32_e32 v4, v7, v13
	v_fmac_f32_e32 v4, v6, v12
	v_cvt_f64_f32_e32 v[4:5], v4
	v_mul_f64 v[4:5], v[4:5], s[0:1]
	v_cvt_f32_f64_e32 v4, v[4:5]
	v_mul_f32_e32 v5, v7, v12
	v_fma_f32 v5, v6, v13, -v5
	v_cvt_f64_f32_e32 v[6:7], v5
	v_mul_f64 v[6:7], v[6:7], s[0:1]
	v_cvt_f32_f64_e32 v5, v[6:7]
	v_accvgpr_read_b32 v6, a14
	v_lshl_add_u64 v[2:3], v[2:3], 0, s[2:3]
	v_accvgpr_read_b32 v7, a15
	global_store_dwordx2 v[2:3], v[4:5], off
	v_mul_f32_e32 v4, v7, v17
	v_fmac_f32_e32 v4, v6, v16
	v_cvt_f64_f32_e32 v[4:5], v4
	v_mul_f64 v[4:5], v[4:5], s[0:1]
	v_cvt_f32_f64_e32 v4, v[4:5]
	v_mul_f32_e32 v5, v7, v16
	v_fma_f32 v5, v6, v17, -v5
	v_cvt_f64_f32_e32 v[6:7], v5
	v_mul_f64 v[6:7], v[6:7], s[0:1]
	s_movk_i32 s4, 0x3000
	s_movk_i32 s5, 0x2000
	v_cvt_f32_f64_e32 v5, v[6:7]
	v_lshl_add_u64 v[2:3], v[2:3], 0, s[2:3]
	global_store_dwordx2 v[2:3], v[4:5], off
	s_and_b64 exec, exec, s[6:7]
	s_cbranch_execz .LBB0_25
; %bb.24:
	v_accvgpr_read_b32 v21, a1
	v_accvgpr_read_b32 v20, a0
	global_load_dwordx2 v[4:5], v[20:21], off offset:3584
	v_accvgpr_read_b32 v22, a16
	v_mad_u64_u32 v[6:7], s[6:7], s8, v22, 0
	v_mov_b32_e32 v18, v7
	ds_read_b64 v[10:11], v182 offset:3584
	ds_read_b64 v[12:13], v182 offset:7504
	;; [unrolled: 1-line block ×4, first 2 shown]
	v_mad_u64_u32 v[18:19], s[6:7], s9, v22, v[18:19]
	v_mov_b32_e32 v7, v18
	v_lshl_add_u64 v[0:1], v[6:7], 3, v[0:1]
	v_add_co_u32_e32 v8, vcc, s10, v20
	s_mulk_i32 s9, 0xe320
	s_nop 0
	v_addc_co_u32_e32 v9, vcc, 0, v21, vcc
	s_waitcnt vmcnt(0) lgkmcnt(3)
	v_mul_f32_e32 v6, v11, v5
	v_mul_f32_e32 v5, v10, v5
	v_fmac_f32_e32 v6, v10, v4
	v_fma_f32 v7, v4, v11, -v5
	v_cvt_f64_f32_e32 v[4:5], v6
	v_cvt_f64_f32_e32 v[6:7], v7
	v_mul_f64 v[4:5], v[4:5], s[0:1]
	v_mul_f64 v[6:7], v[6:7], s[0:1]
	v_cvt_f32_f64_e32 v4, v[4:5]
	v_cvt_f32_f64_e32 v5, v[6:7]
	global_store_dwordx2 v[0:1], v[4:5], off
	global_load_dwordx2 v[0:1], v[8:9], off offset:3408
	v_mov_b32_e32 v6, 0xffffe320
	v_mad_u64_u32 v[2:3], s[6:7], s8, v6, v[2:3]
	v_add_co_u32_e32 v4, vcc, s5, v20
	s_sub_i32 s5, s9, s8
	v_add_u32_e32 v3, s5, v3
	v_addc_co_u32_e32 v5, vcc, 0, v21, vcc
	s_waitcnt vmcnt(0) lgkmcnt(2)
	v_mul_f32_e32 v6, v13, v1
	v_mul_f32_e32 v1, v12, v1
	v_fmac_f32_e32 v6, v12, v0
	v_fma_f32 v7, v0, v13, -v1
	v_cvt_f64_f32_e32 v[0:1], v6
	v_cvt_f64_f32_e32 v[6:7], v7
	v_mul_f64 v[0:1], v[0:1], s[0:1]
	v_mul_f64 v[6:7], v[6:7], s[0:1]
	v_cvt_f32_f64_e32 v0, v[0:1]
	v_cvt_f32_f64_e32 v1, v[6:7]
	global_store_dwordx2 v[2:3], v[0:1], off
	global_load_dwordx2 v[0:1], v[4:5], off offset:3232
	v_add_co_u32_e32 v4, vcc, s4, v20
	v_lshl_add_u64 v[2:3], v[2:3], 0, s[2:3]
	s_nop 0
	v_addc_co_u32_e32 v5, vcc, 0, v21, vcc
	s_waitcnt vmcnt(0) lgkmcnt(1)
	v_mul_f32_e32 v6, v15, v1
	v_mul_f32_e32 v1, v14, v1
	v_fmac_f32_e32 v6, v14, v0
	v_fma_f32 v7, v0, v15, -v1
	v_cvt_f64_f32_e32 v[0:1], v6
	v_cvt_f64_f32_e32 v[6:7], v7
	v_mul_f64 v[0:1], v[0:1], s[0:1]
	v_mul_f64 v[6:7], v[6:7], s[0:1]
	v_cvt_f32_f64_e32 v0, v[0:1]
	v_cvt_f32_f64_e32 v1, v[6:7]
	global_store_dwordx2 v[2:3], v[0:1], off
	global_load_dwordx2 v[0:1], v[4:5], off offset:3056
	v_lshl_add_u64 v[2:3], v[2:3], 0, s[2:3]
	s_waitcnt vmcnt(0) lgkmcnt(0)
	v_mul_f32_e32 v4, v17, v1
	v_mul_f32_e32 v1, v16, v1
	v_fmac_f32_e32 v4, v16, v0
	v_fma_f32 v5, v0, v17, -v1
	v_cvt_f64_f32_e32 v[0:1], v4
	v_cvt_f64_f32_e32 v[4:5], v5
	v_mul_f64 v[0:1], v[0:1], s[0:1]
	v_mul_f64 v[4:5], v[4:5], s[0:1]
	v_cvt_f32_f64_e32 v0, v[0:1]
	v_cvt_f32_f64_e32 v1, v[4:5]
	global_store_dwordx2 v[2:3], v[0:1], off
.LBB0_25:
	s_endpgm
	.section	.rodata,"a",@progbits
	.p2align	6, 0x0
	.amdhsa_kernel bluestein_single_back_len1960_dim1_sp_op_CI_CI
		.amdhsa_group_segment_fixed_size 15680
		.amdhsa_private_segment_fixed_size 0
		.amdhsa_kernarg_size 104
		.amdhsa_user_sgpr_count 2
		.amdhsa_user_sgpr_dispatch_ptr 0
		.amdhsa_user_sgpr_queue_ptr 0
		.amdhsa_user_sgpr_kernarg_segment_ptr 1
		.amdhsa_user_sgpr_dispatch_id 0
		.amdhsa_user_sgpr_kernarg_preload_length 0
		.amdhsa_user_sgpr_kernarg_preload_offset 0
		.amdhsa_user_sgpr_private_segment_size 0
		.amdhsa_uses_dynamic_stack 0
		.amdhsa_enable_private_segment 0
		.amdhsa_system_sgpr_workgroup_id_x 1
		.amdhsa_system_sgpr_workgroup_id_y 0
		.amdhsa_system_sgpr_workgroup_id_z 0
		.amdhsa_system_sgpr_workgroup_info 0
		.amdhsa_system_vgpr_workitem_id 0
		.amdhsa_next_free_vgpr 442
		.amdhsa_next_free_sgpr 30
		.amdhsa_accum_offset 256
		.amdhsa_reserve_vcc 1
		.amdhsa_float_round_mode_32 0
		.amdhsa_float_round_mode_16_64 0
		.amdhsa_float_denorm_mode_32 3
		.amdhsa_float_denorm_mode_16_64 3
		.amdhsa_dx10_clamp 1
		.amdhsa_ieee_mode 1
		.amdhsa_fp16_overflow 0
		.amdhsa_tg_split 0
		.amdhsa_exception_fp_ieee_invalid_op 0
		.amdhsa_exception_fp_denorm_src 0
		.amdhsa_exception_fp_ieee_div_zero 0
		.amdhsa_exception_fp_ieee_overflow 0
		.amdhsa_exception_fp_ieee_underflow 0
		.amdhsa_exception_fp_ieee_inexact 0
		.amdhsa_exception_int_div_zero 0
	.end_amdhsa_kernel
	.text
.Lfunc_end0:
	.size	bluestein_single_back_len1960_dim1_sp_op_CI_CI, .Lfunc_end0-bluestein_single_back_len1960_dim1_sp_op_CI_CI
                                        ; -- End function
	.section	.AMDGPU.csdata,"",@progbits
; Kernel info:
; codeLenInByte = 40172
; NumSgprs: 36
; NumVgprs: 256
; NumAgprs: 186
; TotalNumVgprs: 442
; ScratchSize: 0
; MemoryBound: 0
; FloatMode: 240
; IeeeMode: 1
; LDSByteSize: 15680 bytes/workgroup (compile time only)
; SGPRBlocks: 4
; VGPRBlocks: 55
; NumSGPRsForWavesPerEU: 36
; NumVGPRsForWavesPerEU: 442
; AccumOffset: 256
; Occupancy: 1
; WaveLimiterHint : 1
; COMPUTE_PGM_RSRC2:SCRATCH_EN: 0
; COMPUTE_PGM_RSRC2:USER_SGPR: 2
; COMPUTE_PGM_RSRC2:TRAP_HANDLER: 0
; COMPUTE_PGM_RSRC2:TGID_X_EN: 1
; COMPUTE_PGM_RSRC2:TGID_Y_EN: 0
; COMPUTE_PGM_RSRC2:TGID_Z_EN: 0
; COMPUTE_PGM_RSRC2:TIDIG_COMP_CNT: 0
; COMPUTE_PGM_RSRC3_GFX90A:ACCUM_OFFSET: 63
; COMPUTE_PGM_RSRC3_GFX90A:TG_SPLIT: 0
	.text
	.p2alignl 6, 3212836864
	.fill 256, 4, 3212836864
	.type	__hip_cuid_33d761886df41037,@object ; @__hip_cuid_33d761886df41037
	.section	.bss,"aw",@nobits
	.globl	__hip_cuid_33d761886df41037
__hip_cuid_33d761886df41037:
	.byte	0                               ; 0x0
	.size	__hip_cuid_33d761886df41037, 1

	.ident	"AMD clang version 19.0.0git (https://github.com/RadeonOpenCompute/llvm-project roc-6.4.0 25133 c7fe45cf4b819c5991fe208aaa96edf142730f1d)"
	.section	".note.GNU-stack","",@progbits
	.addrsig
	.addrsig_sym __hip_cuid_33d761886df41037
	.amdgpu_metadata
---
amdhsa.kernels:
  - .agpr_count:     186
    .args:
      - .actual_access:  read_only
        .address_space:  global
        .offset:         0
        .size:           8
        .value_kind:     global_buffer
      - .actual_access:  read_only
        .address_space:  global
        .offset:         8
        .size:           8
        .value_kind:     global_buffer
      - .actual_access:  read_only
        .address_space:  global
        .offset:         16
        .size:           8
        .value_kind:     global_buffer
      - .actual_access:  read_only
        .address_space:  global
        .offset:         24
        .size:           8
        .value_kind:     global_buffer
      - .actual_access:  read_only
        .address_space:  global
        .offset:         32
        .size:           8
        .value_kind:     global_buffer
      - .offset:         40
        .size:           8
        .value_kind:     by_value
      - .address_space:  global
        .offset:         48
        .size:           8
        .value_kind:     global_buffer
      - .address_space:  global
        .offset:         56
        .size:           8
        .value_kind:     global_buffer
      - .address_space:  global
        .offset:         64
        .size:           8
        .value_kind:     global_buffer
      - .address_space:  global
        .offset:         72
        .size:           8
        .value_kind:     global_buffer
      - .offset:         80
        .size:           4
        .value_kind:     by_value
      - .address_space:  global
        .offset:         88
        .size:           8
        .value_kind:     global_buffer
      - .address_space:  global
        .offset:         96
        .size:           8
        .value_kind:     global_buffer
    .group_segment_fixed_size: 15680
    .kernarg_segment_align: 8
    .kernarg_segment_size: 104
    .language:       OpenCL C
    .language_version:
      - 2
      - 0
    .max_flat_workgroup_size: 56
    .name:           bluestein_single_back_len1960_dim1_sp_op_CI_CI
    .private_segment_fixed_size: 0
    .sgpr_count:     36
    .sgpr_spill_count: 0
    .symbol:         bluestein_single_back_len1960_dim1_sp_op_CI_CI.kd
    .uniform_work_group_size: 1
    .uses_dynamic_stack: false
    .vgpr_count:     442
    .vgpr_spill_count: 0
    .wavefront_size: 64
amdhsa.target:   amdgcn-amd-amdhsa--gfx950
amdhsa.version:
  - 1
  - 2
...

	.end_amdgpu_metadata
